;; amdgpu-corpus repo=ROCm/aiter kind=compiled arch=gfx1100 opt=O3
	.text
	.amdgcn_target "amdgcn-amd-amdhsa--gfx1100"
	.amdhsa_code_object_version 6
	.section	.text._ZN7ck_tileL11flush_cacheEv,"axG",@progbits,_ZN7ck_tileL11flush_cacheEv,comdat
	.globl	_ZN7ck_tileL11flush_cacheEv     ; -- Begin function _ZN7ck_tileL11flush_cacheEv
	.p2align	8
	.type	_ZN7ck_tileL11flush_cacheEv,@function
_ZN7ck_tileL11flush_cacheEv:            ; @_ZN7ck_tileL11flush_cacheEv
; %bb.0:
	;;#ASMSTART
	s_icache_inv 
	s_nop 0 
	s_nop 0 
	;; [unrolled: 1-line block ×16, first 2 shown]
	
	;;#ASMEND
	s_endpgm
	.section	.rodata,"a",@progbits
	.p2align	6, 0x0
	.amdhsa_kernel _ZN7ck_tileL11flush_cacheEv
		.amdhsa_group_segment_fixed_size 0
		.amdhsa_private_segment_fixed_size 0
		.amdhsa_kernarg_size 0
		.amdhsa_user_sgpr_count 15
		.amdhsa_user_sgpr_dispatch_ptr 0
		.amdhsa_user_sgpr_queue_ptr 0
		.amdhsa_user_sgpr_kernarg_segment_ptr 0
		.amdhsa_user_sgpr_dispatch_id 0
		.amdhsa_user_sgpr_private_segment_size 0
		.amdhsa_wavefront_size32 1
		.amdhsa_uses_dynamic_stack 0
		.amdhsa_enable_private_segment 0
		.amdhsa_system_sgpr_workgroup_id_x 1
		.amdhsa_system_sgpr_workgroup_id_y 0
		.amdhsa_system_sgpr_workgroup_id_z 0
		.amdhsa_system_sgpr_workgroup_info 0
		.amdhsa_system_vgpr_workitem_id 0
		.amdhsa_next_free_vgpr 1
		.amdhsa_next_free_sgpr 1
		.amdhsa_reserve_vcc 0
		.amdhsa_float_round_mode_32 0
		.amdhsa_float_round_mode_16_64 0
		.amdhsa_float_denorm_mode_32 3
		.amdhsa_float_denorm_mode_16_64 3
		.amdhsa_dx10_clamp 1
		.amdhsa_ieee_mode 1
		.amdhsa_fp16_overflow 0
		.amdhsa_workgroup_processor_mode 1
		.amdhsa_memory_ordered 1
		.amdhsa_forward_progress 0
		.amdhsa_shared_vgpr_count 0
		.amdhsa_exception_fp_ieee_invalid_op 0
		.amdhsa_exception_fp_denorm_src 0
		.amdhsa_exception_fp_ieee_div_zero 0
		.amdhsa_exception_fp_ieee_overflow 0
		.amdhsa_exception_fp_ieee_underflow 0
		.amdhsa_exception_fp_ieee_inexact 0
		.amdhsa_exception_int_div_zero 0
	.end_amdhsa_kernel
	.section	.text._ZN7ck_tileL11flush_cacheEv,"axG",@progbits,_ZN7ck_tileL11flush_cacheEv,comdat
.Lfunc_end0:
	.size	_ZN7ck_tileL11flush_cacheEv, .Lfunc_end0-_ZN7ck_tileL11flush_cacheEv
                                        ; -- End function
	.section	.AMDGPU.csdata,"",@progbits
; Kernel info:
; codeLenInByte = 344
; NumSgprs: 0
; NumVgprs: 0
; ScratchSize: 0
; MemoryBound: 0
; FloatMode: 240
; IeeeMode: 1
; LDSByteSize: 0 bytes/workgroup (compile time only)
; SGPRBlocks: 0
; VGPRBlocks: 0
; NumSGPRsForWavesPerEU: 1
; NumVGPRsForWavesPerEU: 1
; Occupancy: 16
; WaveLimiterHint : 0
; COMPUTE_PGM_RSRC2:SCRATCH_EN: 0
; COMPUTE_PGM_RSRC2:USER_SGPR: 15
; COMPUTE_PGM_RSRC2:TRAP_HANDLER: 0
; COMPUTE_PGM_RSRC2:TGID_X_EN: 1
; COMPUTE_PGM_RSRC2:TGID_Y_EN: 0
; COMPUTE_PGM_RSRC2:TGID_Z_EN: 0
; COMPUTE_PGM_RSRC2:TIDIG_COMP_CNT: 0
	.text
	.protected	_ZN5aiter20matrixMultiplySharedEPfS0_S0_iiiiii ; -- Begin function _ZN5aiter20matrixMultiplySharedEPfS0_S0_iiiiii
	.globl	_ZN5aiter20matrixMultiplySharedEPfS0_S0_iiiiii
	.p2align	8
	.type	_ZN5aiter20matrixMultiplySharedEPfS0_S0_iiiiii,@function
_ZN5aiter20matrixMultiplySharedEPfS0_S0_iiiiii: ; @_ZN5aiter20matrixMultiplySharedEPfS0_S0_iiiiii
; %bb.0:
	s_clause 0x1
	s_load_b32 s16, s[0:1], 0x3c
	s_load_b128 s[4:7], s[0:1], 0x18
	v_dual_mov_b32 v2, 0 :: v_dual_and_b32 v7, 0x3ff, v0
	v_bfe_u32 v3, v0, 10, 10
	s_clause 0x2
	s_load_b128 s[8:11], s[0:1], 0x0
	s_load_b64 s[2:3], s[0:1], 0x10
	s_load_b64 s[12:13], s[0:1], 0x28
	v_mov_b32_e32 v10, 0
	v_lshlrev_b32_e32 v4, 2, v7
	v_lshlrev_b32_e32 v8, 7, v3
	s_delay_alu instid0(VALU_DEP_2) | instskip(NEXT) | instid1(VALU_DEP_2)
	v_or_b32_e32 v9, 0x1000, v4
	v_add_nc_u32_e32 v11, v8, v4
	s_delay_alu instid0(VALU_DEP_2)
	v_add_nc_u32_e32 v12, v9, v8
	v_add_nc_u32_e32 v14, 0x400, v9
	;; [unrolled: 1-line block ×3, first 2 shown]
	s_waitcnt lgkmcnt(0)
	s_lshr_b32 s0, s16, 16
	s_and_b32 s1, s16, 0xffff
	v_mad_u64_u32 v[0:1], null, s15, s0, v[3:4]
	v_mul_lo_u32 v5, v3, s7
	s_mul_i32 s14, s14, s1
	s_add_i32 s0, s5, -1
	v_add_nc_u32_e32 v4, s14, v7
	s_lshr_b32 s1, s0, 5
	v_add_nc_u32_e32 v16, 0xc00, v9
	s_delay_alu instid0(VALU_DEP_4)
	v_mul_lo_u32 v13, v0, s5
	v_cmp_gt_i32_e64 s0, s4, v0
	v_add3_u32 v5, v7, v5, s14
	v_cmp_gt_i32_e32 vcc_lo, s7, v4
	s_add_i32 s4, s1, 1
	s_lshl_b32 s7, s7, 5
	s_branch .LBB1_3
.LBB1_1:                                ;   in Loop: Header=BB1_3 Depth=1
	s_or_b32 exec_lo, exec_lo, s15
.LBB1_2:                                ;   in Loop: Header=BB1_3 Depth=1
	s_delay_alu instid0(SALU_CYCLE_1)
	s_or_b32 exec_lo, exec_lo, s14
	s_waitcnt vmcnt(0)
	ds_store_b32 v12, v6
	s_waitcnt lgkmcnt(0)
	s_barrier
	buffer_gl0_inv
	ds_load_2addr_b32 v[25:26], v9 offset1:32
	ds_load_b128 v[17:20], v8
	ds_load_2addr_b32 v[27:28], v9 offset0:64 offset1:96
	ds_load_b128 v[21:24], v8 offset:16
	ds_load_2addr_b32 v[29:30], v9 offset0:128 offset1:160
	s_add_i32 s4, s4, -1
	v_add_nc_u32_e32 v7, 32, v7
	s_cmp_eq_u32 s4, 0
	v_add_nc_u32_e32 v5, s7, v5
	s_waitcnt lgkmcnt(3)
	v_dual_fmac_f32 v10, v17, v25 :: v_dual_add_nc_u32 v3, 32, v3
	s_delay_alu instid0(VALU_DEP_1) | instskip(SKIP_3) | instid1(VALU_DEP_1)
	v_fmac_f32_e32 v10, v18, v26
	ds_load_2addr_b32 v[25:26], v9 offset0:192 offset1:224
	s_waitcnt lgkmcnt(3)
	v_fmac_f32_e32 v10, v19, v27
	v_fmac_f32_e32 v10, v20, v28
	ds_load_2addr_b32 v[27:28], v14 offset1:32
	ds_load_b128 v[17:20], v8 offset:32
	s_waitcnt lgkmcnt(3)
	v_fmac_f32_e32 v10, v21, v29
	s_delay_alu instid0(VALU_DEP_1) | instskip(SKIP_3) | instid1(VALU_DEP_1)
	v_fmac_f32_e32 v10, v22, v30
	ds_load_2addr_b32 v[29:30], v14 offset0:64 offset1:96
	s_waitcnt lgkmcnt(3)
	v_fmac_f32_e32 v10, v23, v25
	v_fmac_f32_e32 v10, v24, v26
	ds_load_b128 v[21:24], v8 offset:48
	ds_load_2addr_b32 v[25:26], v14 offset0:128 offset1:160
	s_waitcnt lgkmcnt(3)
	v_fmac_f32_e32 v10, v17, v27
	s_delay_alu instid0(VALU_DEP_1) | instskip(SKIP_3) | instid1(VALU_DEP_1)
	v_fmac_f32_e32 v10, v18, v28
	ds_load_2addr_b32 v[27:28], v14 offset0:192 offset1:224
	s_waitcnt lgkmcnt(3)
	v_fmac_f32_e32 v10, v19, v29
	v_fmac_f32_e32 v10, v20, v30
	ds_load_2addr_b32 v[29:30], v15 offset1:32
	ds_load_b128 v[17:20], v8 offset:64
	s_waitcnt lgkmcnt(3)
	v_fmac_f32_e32 v10, v21, v25
	s_delay_alu instid0(VALU_DEP_1) | instskip(SKIP_3) | instid1(VALU_DEP_1)
	v_fmac_f32_e32 v10, v22, v26
	ds_load_2addr_b32 v[25:26], v15 offset0:64 offset1:96
	s_waitcnt lgkmcnt(3)
	v_fmac_f32_e32 v10, v23, v27
	v_fmac_f32_e32 v10, v24, v28
	ds_load_b128 v[21:24], v8 offset:80
	ds_load_2addr_b32 v[27:28], v15 offset0:128 offset1:160
	s_waitcnt lgkmcnt(3)
	v_fmac_f32_e32 v10, v17, v29
	;; [unrolled: 20-line block ×3, first 2 shown]
	s_delay_alu instid0(VALU_DEP_1) | instskip(SKIP_3) | instid1(VALU_DEP_1)
	v_fmac_f32_e32 v10, v18, v26
	ds_load_2addr_b32 v[17:18], v16 offset0:192 offset1:224
	s_waitcnt lgkmcnt(3)
	v_fmac_f32_e32 v10, v19, v27
	v_fmac_f32_e32 v10, v20, v28
	s_waitcnt lgkmcnt(1)
	s_delay_alu instid0(VALU_DEP_1) | instskip(NEXT) | instid1(VALU_DEP_1)
	v_fmac_f32_e32 v10, v21, v29
	v_fmac_f32_e32 v10, v22, v30
	s_waitcnt lgkmcnt(0)
	s_delay_alu instid0(VALU_DEP_1) | instskip(NEXT) | instid1(VALU_DEP_1)
	v_fmac_f32_e32 v10, v23, v17
	v_fmac_f32_e32 v10, v24, v18
	s_cbranch_scc1 .LBB1_10
.LBB1_3:                                ; =>This Inner Loop Header: Depth=1
	v_mov_b32_e32 v1, 0
	s_and_saveexec_b32 s14, s0
	s_cbranch_execz .LBB1_7
; %bb.4:                                ;   in Loop: Header=BB1_3 Depth=1
	v_mov_b32_e32 v1, 0
	s_mov_b32 s15, exec_lo
	v_cmpx_gt_u32_e64 s5, v7
	s_cbranch_execz .LBB1_6
; %bb.5:                                ;   in Loop: Header=BB1_3 Depth=1
	v_add_nc_u32_e32 v1, v13, v7
	s_delay_alu instid0(VALU_DEP_1) | instskip(NEXT) | instid1(VALU_DEP_1)
	v_lshlrev_b64 v[17:18], 2, v[1:2]
	v_add_co_u32 v17, s1, s8, v17
	s_delay_alu instid0(VALU_DEP_1)
	v_add_co_ci_u32_e64 v18, s1, s9, v18, s1
	global_load_b32 v1, v[17:18], off
.LBB1_6:                                ;   in Loop: Header=BB1_3 Depth=1
	s_or_b32 exec_lo, exec_lo, s15
.LBB1_7:                                ;   in Loop: Header=BB1_3 Depth=1
	s_delay_alu instid0(SALU_CYCLE_1)
	s_or_b32 exec_lo, exec_lo, s14
	v_mov_b32_e32 v6, 0
	s_waitcnt vmcnt(0)
	ds_store_b32 v11, v1
	s_and_saveexec_b32 s14, vcc_lo
	s_cbranch_execz .LBB1_2
; %bb.8:                                ;   in Loop: Header=BB1_3 Depth=1
	v_mov_b32_e32 v6, 0
	s_mov_b32 s15, exec_lo
	v_cmpx_gt_u32_e64 s6, v3
	s_cbranch_execz .LBB1_1
; %bb.9:                                ;   in Loop: Header=BB1_3 Depth=1
	v_mov_b32_e32 v6, v2
	s_delay_alu instid0(VALU_DEP_1) | instskip(NEXT) | instid1(VALU_DEP_1)
	v_lshlrev_b64 v[17:18], 2, v[5:6]
	v_add_co_u32 v17, s1, s10, v17
	s_delay_alu instid0(VALU_DEP_1)
	v_add_co_ci_u32_e64 v18, s1, s11, v18, s1
	global_load_b32 v6, v[17:18], off
	s_branch .LBB1_1
.LBB1_10:
	v_cmp_gt_i32_e32 vcc_lo, s12, v0
	v_cmp_gt_i32_e64 s0, s13, v4
	s_delay_alu instid0(VALU_DEP_1) | instskip(NEXT) | instid1(SALU_CYCLE_1)
	s_and_b32 s0, vcc_lo, s0
	s_and_saveexec_b32 s1, s0
	s_cbranch_execz .LBB1_12
; %bb.11:
	v_mad_u64_u32 v[1:2], null, v0, s13, v[4:5]
	s_delay_alu instid0(VALU_DEP_1) | instskip(NEXT) | instid1(VALU_DEP_1)
	v_ashrrev_i32_e32 v2, 31, v1
	v_lshlrev_b64 v[0:1], 2, v[1:2]
	s_delay_alu instid0(VALU_DEP_1) | instskip(NEXT) | instid1(VALU_DEP_2)
	v_add_co_u32 v0, vcc_lo, s2, v0
	v_add_co_ci_u32_e32 v1, vcc_lo, s3, v1, vcc_lo
	global_store_b32 v[0:1], v10, off
.LBB1_12:
	s_nop 0
	s_sendmsg sendmsg(MSG_DEALLOC_VGPRS)
	s_endpgm
	.section	.rodata,"a",@progbits
	.p2align	6, 0x0
	.amdhsa_kernel _ZN5aiter20matrixMultiplySharedEPfS0_S0_iiiiii
		.amdhsa_group_segment_fixed_size 8192
		.amdhsa_private_segment_fixed_size 0
		.amdhsa_kernarg_size 304
		.amdhsa_user_sgpr_count 14
		.amdhsa_user_sgpr_dispatch_ptr 0
		.amdhsa_user_sgpr_queue_ptr 0
		.amdhsa_user_sgpr_kernarg_segment_ptr 1
		.amdhsa_user_sgpr_dispatch_id 0
		.amdhsa_user_sgpr_private_segment_size 0
		.amdhsa_wavefront_size32 1
		.amdhsa_uses_dynamic_stack 0
		.amdhsa_enable_private_segment 0
		.amdhsa_system_sgpr_workgroup_id_x 1
		.amdhsa_system_sgpr_workgroup_id_y 1
		.amdhsa_system_sgpr_workgroup_id_z 0
		.amdhsa_system_sgpr_workgroup_info 0
		.amdhsa_system_vgpr_workitem_id 1
		.amdhsa_next_free_vgpr 31
		.amdhsa_next_free_sgpr 17
		.amdhsa_reserve_vcc 1
		.amdhsa_float_round_mode_32 0
		.amdhsa_float_round_mode_16_64 0
		.amdhsa_float_denorm_mode_32 3
		.amdhsa_float_denorm_mode_16_64 3
		.amdhsa_dx10_clamp 1
		.amdhsa_ieee_mode 1
		.amdhsa_fp16_overflow 0
		.amdhsa_workgroup_processor_mode 1
		.amdhsa_memory_ordered 1
		.amdhsa_forward_progress 0
		.amdhsa_shared_vgpr_count 0
		.amdhsa_exception_fp_ieee_invalid_op 0
		.amdhsa_exception_fp_denorm_src 0
		.amdhsa_exception_fp_ieee_div_zero 0
		.amdhsa_exception_fp_ieee_overflow 0
		.amdhsa_exception_fp_ieee_underflow 0
		.amdhsa_exception_fp_ieee_inexact 0
		.amdhsa_exception_int_div_zero 0
	.end_amdhsa_kernel
	.text
.Lfunc_end1:
	.size	_ZN5aiter20matrixMultiplySharedEPfS0_S0_iiiiii, .Lfunc_end1-_ZN5aiter20matrixMultiplySharedEPfS0_S0_iiiiii
                                        ; -- End function
	.section	.AMDGPU.csdata,"",@progbits
; Kernel info:
; codeLenInByte = 972
; NumSgprs: 19
; NumVgprs: 31
; ScratchSize: 0
; MemoryBound: 0
; FloatMode: 240
; IeeeMode: 1
; LDSByteSize: 8192 bytes/workgroup (compile time only)
; SGPRBlocks: 2
; VGPRBlocks: 3
; NumSGPRsForWavesPerEU: 19
; NumVGPRsForWavesPerEU: 31
; Occupancy: 16
; WaveLimiterHint : 0
; COMPUTE_PGM_RSRC2:SCRATCH_EN: 0
; COMPUTE_PGM_RSRC2:USER_SGPR: 14
; COMPUTE_PGM_RSRC2:TRAP_HANDLER: 0
; COMPUTE_PGM_RSRC2:TGID_X_EN: 1
; COMPUTE_PGM_RSRC2:TGID_Y_EN: 1
; COMPUTE_PGM_RSRC2:TGID_Z_EN: 0
; COMPUTE_PGM_RSRC2:TIDIG_COMP_CNT: 1
	.section	.text._ZN5aiter14LLGemm1_kernelI6__halfLi2EEEvPKT_S4_PS2_i,"axG",@progbits,_ZN5aiter14LLGemm1_kernelI6__halfLi2EEEvPKT_S4_PS2_i,comdat
	.protected	_ZN5aiter14LLGemm1_kernelI6__halfLi2EEEvPKT_S4_PS2_i ; -- Begin function _ZN5aiter14LLGemm1_kernelI6__halfLi2EEEvPKT_S4_PS2_i
	.globl	_ZN5aiter14LLGemm1_kernelI6__halfLi2EEEvPKT_S4_PS2_i
	.p2align	8
	.type	_ZN5aiter14LLGemm1_kernelI6__halfLi2EEEvPKT_S4_PS2_i,@function
_ZN5aiter14LLGemm1_kernelI6__halfLi2EEEvPKT_S4_PS2_i: ; @_ZN5aiter14LLGemm1_kernelI6__halfLi2EEEvPKT_S4_PS2_i
; %bb.0:
	s_clause 0x2
	s_load_b32 s2, s[0:1], 0x18
	s_load_b128 s[4:7], s[0:1], 0x0
	s_load_b64 s[8:9], s[0:1], 0x10
	v_lshlrev_b32_e32 v1, 3, v0
                                        ; implicit-def: $vgpr5
	s_waitcnt lgkmcnt(0)
	s_delay_alu instid0(VALU_DEP_1)
	v_cmp_gt_i32_e32 vcc_lo, s2, v1
                                        ; implicit-def: $vgpr1
	s_and_saveexec_b32 s3, vcc_lo
	s_cbranch_execz .LBB2_2
; %bb.1:
	s_mul_i32 s10, s15, s2
	s_mov_b32 s11, 0
	s_bfe_u32 s10, s10, 0x1d0002
	s_delay_alu instid0(SALU_CYCLE_1) | instskip(SKIP_1) | instid1(VALU_DEP_1)
	v_dual_mov_b32 v2, 0 :: v_dual_add_nc_u32 v1, s10, v0
	s_lshr_b32 s10, s2, 3
	v_lshlrev_b64 v[1:2], 4, v[1:2]
	s_delay_alu instid0(VALU_DEP_1) | instskip(NEXT) | instid1(VALU_DEP_1)
	v_add_co_u32 v1, s2, s4, v1
	v_add_co_ci_u32_e64 v2, s2, s5, v2, s2
	s_lshl_b64 s[4:5], s[10:11], 4
	s_delay_alu instid0(VALU_DEP_2) | instid1(SALU_CYCLE_1)
	v_add_co_u32 v3, s2, v1, s4
	s_delay_alu instid0(VALU_DEP_1)
	v_add_co_ci_u32_e64 v4, s2, s5, v2, s2
	s_clause 0x1
	global_load_b128 v[5:8], v[1:2], off slc dlc
	global_load_b128 v[1:4], v[3:4], off slc dlc
.LBB2_2:
	s_or_b32 exec_lo, exec_lo, s3
	v_lshlrev_b32_e32 v9, 4, v0
	s_waitcnt vmcnt(1)
	v_lshrrev_b32_e32 v13, 16, v5
	s_waitcnt vmcnt(0)
	v_lshrrev_b32_e32 v15, 16, v1
	v_cvt_f32_f16_e32 v5, v5
	v_cvt_f32_f16_e32 v1, v1
	global_load_b128 v[9:12], v9, s[6:7]
	v_cvt_f32_f16_e32 v13, v13
	v_cvt_f32_f16_e32 v15, v15
	s_load_b32 s0, s[0:1], 0x2c
	s_mov_b32 s1, exec_lo
	s_waitcnt vmcnt(0)
	v_lshrrev_b32_e32 v14, 16, v9
	v_cvt_f32_f16_e32 v9, v9
	s_delay_alu instid0(VALU_DEP_2) | instskip(NEXT) | instid1(VALU_DEP_2)
	v_cvt_f32_f16_e32 v14, v14
	v_mul_f32_e32 v5, v9, v5
	v_mul_f32_e32 v1, v9, v1
	s_delay_alu instid0(VALU_DEP_3) | instskip(SKIP_1) | instid1(VALU_DEP_4)
	v_mul_f32_e32 v9, v14, v13
	v_mul_f32_e32 v13, v14, v15
	v_fma_mix_f32 v5, v6, v10, v5 op_sel_hi:[1,1,0]
	s_delay_alu instid0(VALU_DEP_4)
	v_fma_mix_f32 v14, v2, v10, v1 op_sel_hi:[1,1,0]
	v_mbcnt_lo_u32_b32 v1, -1, 0
	v_fma_mix_f32 v6, v6, v10, v9 op_sel:[1,1,0] op_sel_hi:[1,1,0]
	v_fma_mix_f32 v2, v2, v10, v13 op_sel:[1,1,0] op_sel_hi:[1,1,0]
	v_fma_mix_f32 v5, v7, v11, v5 op_sel_hi:[1,1,0]
	v_fma_mix_f32 v9, v3, v11, v14 op_sel_hi:[1,1,0]
	s_delay_alu instid0(VALU_DEP_4) | instskip(NEXT) | instid1(VALU_DEP_4)
	v_fma_mix_f32 v6, v7, v11, v6 op_sel:[1,1,0] op_sel_hi:[1,1,0]
	v_fma_mix_f32 v2, v3, v11, v2 op_sel:[1,1,0] op_sel_hi:[1,1,0]
	v_xor_b32_e32 v3, 16, v1
	v_fma_mix_f32 v5, v8, v12, v5 op_sel_hi:[1,1,0]
	v_fma_mix_f32 v7, v4, v12, v9 op_sel_hi:[1,1,0]
	v_fma_mix_f32 v6, v8, v12, v6 op_sel:[1,1,0] op_sel_hi:[1,1,0]
	v_fma_mix_f32 v2, v4, v12, v2 op_sel:[1,1,0] op_sel_hi:[1,1,0]
	v_cmp_gt_i32_e64 s2, 32, v3
	s_delay_alu instid0(VALU_DEP_3) | instskip(NEXT) | instid1(VALU_DEP_3)
	v_add_f32_e32 v4, v5, v6
	v_add_f32_e32 v2, v7, v2
	s_delay_alu instid0(VALU_DEP_3) | instskip(SKIP_1) | instid1(VALU_DEP_4)
	v_cndmask_b32_e64 v3, v1, v3, s2
	v_xor_b32_e32 v6, 8, v1
	v_cndmask_b32_e32 v4, 0, v4, vcc_lo
	s_delay_alu instid0(VALU_DEP_3) | instskip(NEXT) | instid1(VALU_DEP_3)
	v_dual_cndmask_b32 v2, 0, v2 :: v_dual_lshlrev_b32 v3, 2, v3
	v_cmp_gt_i32_e32 vcc_lo, 32, v6
	ds_bpermute_b32 v5, v3, v4
	v_cndmask_b32_e32 v6, v1, v6, vcc_lo
	s_waitcnt lgkmcnt(0)
	v_add_f32_e32 v4, v4, v5
	ds_bpermute_b32 v3, v3, v2
	v_lshlrev_b32_e32 v6, 2, v6
	s_waitcnt lgkmcnt(0)
	v_add_f32_e32 v2, v2, v3
	ds_bpermute_b32 v3, v6, v4
	s_waitcnt lgkmcnt(0)
	v_add_f32_e32 v3, v4, v3
	ds_bpermute_b32 v5, v6, v2
	v_xor_b32_e32 v6, 4, v1
	s_delay_alu instid0(VALU_DEP_1) | instskip(SKIP_1) | instid1(VALU_DEP_1)
	v_cmp_gt_i32_e32 vcc_lo, 32, v6
	v_cndmask_b32_e32 v6, v1, v6, vcc_lo
	v_lshlrev_b32_e32 v6, 2, v6
	ds_bpermute_b32 v4, v6, v3
	s_waitcnt lgkmcnt(0)
	v_dual_add_f32 v3, v3, v4 :: v_dual_add_f32 v2, v2, v5
	ds_bpermute_b32 v5, v6, v2
	v_xor_b32_e32 v6, 2, v1
	s_delay_alu instid0(VALU_DEP_1) | instskip(SKIP_1) | instid1(VALU_DEP_1)
	v_cmp_gt_i32_e32 vcc_lo, 32, v6
	v_cndmask_b32_e32 v6, v1, v6, vcc_lo
	v_lshlrev_b32_e32 v6, 2, v6
	s_waitcnt lgkmcnt(0)
	v_add_f32_e32 v2, v2, v5
	ds_bpermute_b32 v4, v6, v3
	ds_bpermute_b32 v5, v6, v2
	v_xor_b32_e32 v6, 1, v1
	s_delay_alu instid0(VALU_DEP_1) | instskip(SKIP_2) | instid1(VALU_DEP_1)
	v_cmp_gt_i32_e32 vcc_lo, 32, v6
	v_cndmask_b32_e32 v6, v1, v6, vcc_lo
	s_waitcnt lgkmcnt(1)
	v_dual_add_f32 v3, v3, v4 :: v_dual_lshlrev_b32 v6, 2, v6
	s_waitcnt lgkmcnt(0)
	v_dual_add_f32 v5, v2, v5 :: v_dual_and_b32 v2, 31, v0
	ds_bpermute_b32 v4, v6, v3
	ds_bpermute_b32 v6, v6, v5
	s_waitcnt lgkmcnt(0)
	v_dual_add_f32 v4, v3, v4 :: v_dual_add_f32 v3, v5, v6
	v_cmpx_gt_u32_e32 2, v2
	s_cbranch_execz .LBB2_4
; %bb.3:
	v_lshrrev_b32_e32 v5, 3, v0
	v_cmp_eq_u32_e32 vcc_lo, 1, v2
	s_delay_alu instid0(VALU_DEP_2) | instskip(NEXT) | instid1(VALU_DEP_1)
	v_dual_cndmask_b32 v6, v4, v3 :: v_dual_and_b32 v5, 0x7c, v5
	v_lshl_or_b32 v5, v2, 7, v5
	ds_store_b32 v5, v6
.LBB2_4:
	s_or_b32 exec_lo, exec_lo, s1
	s_and_b32 s0, 0xffff, s0
	v_cvt_f32_u32_e32 v7, v0
	s_lshr_b32 s1, s0, 5
	s_waitcnt lgkmcnt(0)
	v_cvt_f32_u32_e32 v5, s1
	s_barrier
	buffer_gl0_inv
	s_mov_b32 s2, exec_lo
	v_rcp_iflag_f32_e32 v6, v5
	s_waitcnt_depctr 0xfff
	v_mul_f32_e32 v6, v7, v6
	s_delay_alu instid0(VALU_DEP_1) | instskip(NEXT) | instid1(VALU_DEP_1)
	v_trunc_f32_e32 v6, v6
	v_fma_f32 v7, -v6, v5, v7
	v_cvt_u32_f32_e32 v6, v6
	s_delay_alu instid0(VALU_DEP_2) | instskip(NEXT) | instid1(VALU_DEP_2)
	v_cmp_ge_f32_e64 vcc_lo, |v7|, v5
	v_add_co_ci_u32_e32 v5, vcc_lo, 0, v6, vcc_lo
	s_delay_alu instid0(VALU_DEP_1)
	v_cmpx_gt_u16_e32 2, v5
	s_cbranch_execz .LBB2_10
; %bb.5:
	v_mul_lo_u16 v6, v5, s1
	v_cmp_eq_u16_e32 vcc_lo, 1, v5
	s_cmp_lt_u32 s0, 64
	s_delay_alu instid0(VALU_DEP_2) | instskip(NEXT) | instid1(VALU_DEP_1)
	v_sub_nc_u16 v0, v0, v6
	v_and_b32_e32 v6, 0xffff, v0
	v_and_b32_e32 v0, 0xffff, v5
	s_delay_alu instid0(VALU_DEP_2) | instskip(NEXT) | instid1(VALU_DEP_1)
	v_lshlrev_b32_e32 v6, 2, v6
	v_lshl_add_u32 v6, v0, 7, v6
	ds_load_b32 v6, v6
	s_waitcnt lgkmcnt(0)
	v_cndmask_b32_e32 v3, v3, v6, vcc_lo
	v_cmp_eq_u16_e32 vcc_lo, 0, v5
	v_cndmask_b32_e32 v4, v4, v6, vcc_lo
	s_cbranch_scc1 .LBB2_8
; %bb.6:
	s_lshr_b32 s2, s0, 6
	.p2align	6
.LBB2_7:                                ; =>This Inner Loop Header: Depth=1
	s_delay_alu instid0(SALU_CYCLE_1) | instskip(SKIP_1) | instid1(VALU_DEP_2)
	v_xor_b32_e32 v5, s2, v1
	v_cmp_eq_u32_e64 s0, 0, v0
	v_cmp_gt_i32_e32 vcc_lo, 32, v5
	v_cndmask_b32_e32 v5, v1, v5, vcc_lo
	v_cmp_eq_u32_e32 vcc_lo, 1, v0
	s_delay_alu instid0(VALU_DEP_2) | instskip(SKIP_3) | instid1(VALU_DEP_1)
	v_dual_cndmask_b32 v6, v4, v3 :: v_dual_lshlrev_b32 v5, 2, v5
	ds_bpermute_b32 v5, v5, v6
	s_waitcnt lgkmcnt(0)
	v_add_f32_e32 v5, v6, v5
	v_cndmask_b32_e32 v3, v3, v5, vcc_lo
	v_cndmask_b32_e64 v4, v4, v5, s0
	s_lshr_b32 s0, s2, 1
	s_cmp_lt_u32 s2, 2
	s_mov_b32 s2, s0
	s_cbranch_scc0 .LBB2_7
.LBB2_8:
	s_lshl_b32 s0, s1, 1
	v_cvt_f32_ubyte0_e32 v7, v2
	v_cvt_f32_u32_e32 v5, s0
	v_xor_b32_e32 v8, s1, v1
	s_mov_b32 s1, 0
	s_delay_alu instid0(VALU_DEP_2) | instskip(NEXT) | instid1(VALU_DEP_1)
	v_rcp_iflag_f32_e32 v6, v5
	v_cmp_gt_i32_e32 vcc_lo, 32, v8
	s_waitcnt_depctr 0xfff
	v_dual_cndmask_b32 v1, v1, v8 :: v_dual_mul_f32 v6, v7, v6
	s_delay_alu instid0(VALU_DEP_1) | instskip(NEXT) | instid1(VALU_DEP_2)
	v_lshlrev_b32_e32 v1, 2, v1
	v_trunc_f32_e32 v6, v6
	s_delay_alu instid0(VALU_DEP_1) | instskip(SKIP_1) | instid1(VALU_DEP_2)
	v_fma_f32 v7, -v6, v5, v7
	v_cvt_u32_f32_e32 v6, v6
	v_cmp_ge_f32_e64 vcc_lo, |v7|, v5
	s_delay_alu instid0(VALU_DEP_2) | instskip(SKIP_2) | instid1(VALU_DEP_3)
	v_add_co_ci_u32_e32 v5, vcc_lo, 0, v6, vcc_lo
	v_cmp_eq_u32_e32 vcc_lo, 1, v0
	v_cndmask_b32_e32 v0, v4, v3, vcc_lo
	v_mul_lo_u32 v3, v5, s0
	ds_bpermute_b32 v1, v1, v0
	v_sub_nc_u32_e32 v2, v2, v3
	s_delay_alu instid0(VALU_DEP_1) | instskip(NEXT) | instid1(VALU_DEP_1)
	v_and_b32_e32 v2, 0xfff, v2
	v_cmp_eq_u32_e32 vcc_lo, 0, v2
	s_and_b32 exec_lo, exec_lo, vcc_lo
	s_cbranch_execz .LBB2_10
; %bb.9:
	v_cvt_f16_f32_e32 v0, v0
	s_waitcnt lgkmcnt(0)
	v_cvt_f16_f32_e32 v1, v1
	s_and_b32 s0, s15, 0x7fffffff
	s_delay_alu instid0(SALU_CYCLE_1) | instskip(NEXT) | instid1(VALU_DEP_1)
	s_lshl_b64 s[0:1], s[0:1], 2
	v_pack_b32_f16 v0, v0, v1
	v_mov_b32_e32 v1, 0
	s_add_u32 s0, s8, s0
	s_addc_u32 s1, s9, s1
	global_store_b32 v1, v0, s[0:1]
.LBB2_10:
	s_nop 0
	s_sendmsg sendmsg(MSG_DEALLOC_VGPRS)
	s_endpgm
	.section	.rodata,"a",@progbits
	.p2align	6, 0x0
	.amdhsa_kernel _ZN5aiter14LLGemm1_kernelI6__halfLi2EEEvPKT_S4_PS2_i
		.amdhsa_group_segment_fixed_size 256
		.amdhsa_private_segment_fixed_size 0
		.amdhsa_kernarg_size 288
		.amdhsa_user_sgpr_count 15
		.amdhsa_user_sgpr_dispatch_ptr 0
		.amdhsa_user_sgpr_queue_ptr 0
		.amdhsa_user_sgpr_kernarg_segment_ptr 1
		.amdhsa_user_sgpr_dispatch_id 0
		.amdhsa_user_sgpr_private_segment_size 0
		.amdhsa_wavefront_size32 1
		.amdhsa_uses_dynamic_stack 0
		.amdhsa_enable_private_segment 0
		.amdhsa_system_sgpr_workgroup_id_x 1
		.amdhsa_system_sgpr_workgroup_id_y 0
		.amdhsa_system_sgpr_workgroup_id_z 0
		.amdhsa_system_sgpr_workgroup_info 0
		.amdhsa_system_vgpr_workitem_id 0
		.amdhsa_next_free_vgpr 16
		.amdhsa_next_free_sgpr 16
		.amdhsa_reserve_vcc 1
		.amdhsa_float_round_mode_32 0
		.amdhsa_float_round_mode_16_64 0
		.amdhsa_float_denorm_mode_32 3
		.amdhsa_float_denorm_mode_16_64 3
		.amdhsa_dx10_clamp 1
		.amdhsa_ieee_mode 1
		.amdhsa_fp16_overflow 0
		.amdhsa_workgroup_processor_mode 1
		.amdhsa_memory_ordered 1
		.amdhsa_forward_progress 0
		.amdhsa_shared_vgpr_count 0
		.amdhsa_exception_fp_ieee_invalid_op 0
		.amdhsa_exception_fp_denorm_src 0
		.amdhsa_exception_fp_ieee_div_zero 0
		.amdhsa_exception_fp_ieee_overflow 0
		.amdhsa_exception_fp_ieee_underflow 0
		.amdhsa_exception_fp_ieee_inexact 0
		.amdhsa_exception_int_div_zero 0
	.end_amdhsa_kernel
	.section	.text._ZN5aiter14LLGemm1_kernelI6__halfLi2EEEvPKT_S4_PS2_i,"axG",@progbits,_ZN5aiter14LLGemm1_kernelI6__halfLi2EEEvPKT_S4_PS2_i,comdat
.Lfunc_end2:
	.size	_ZN5aiter14LLGemm1_kernelI6__halfLi2EEEvPKT_S4_PS2_i, .Lfunc_end2-_ZN5aiter14LLGemm1_kernelI6__halfLi2EEEvPKT_S4_PS2_i
                                        ; -- End function
	.section	.AMDGPU.csdata,"",@progbits
; Kernel info:
; codeLenInByte = 1192
; NumSgprs: 18
; NumVgprs: 16
; ScratchSize: 0
; MemoryBound: 0
; FloatMode: 240
; IeeeMode: 1
; LDSByteSize: 256 bytes/workgroup (compile time only)
; SGPRBlocks: 2
; VGPRBlocks: 1
; NumSGPRsForWavesPerEU: 18
; NumVGPRsForWavesPerEU: 16
; Occupancy: 16
; WaveLimiterHint : 0
; COMPUTE_PGM_RSRC2:SCRATCH_EN: 0
; COMPUTE_PGM_RSRC2:USER_SGPR: 15
; COMPUTE_PGM_RSRC2:TRAP_HANDLER: 0
; COMPUTE_PGM_RSRC2:TGID_X_EN: 1
; COMPUTE_PGM_RSRC2:TGID_Y_EN: 0
; COMPUTE_PGM_RSRC2:TGID_Z_EN: 0
; COMPUTE_PGM_RSRC2:TIDIG_COMP_CNT: 0
	.section	.text._ZN5aiter14LLGemm1_kernelI6__halfLi4EEEvPKT_S4_PS2_i,"axG",@progbits,_ZN5aiter14LLGemm1_kernelI6__halfLi4EEEvPKT_S4_PS2_i,comdat
	.protected	_ZN5aiter14LLGemm1_kernelI6__halfLi4EEEvPKT_S4_PS2_i ; -- Begin function _ZN5aiter14LLGemm1_kernelI6__halfLi4EEEvPKT_S4_PS2_i
	.globl	_ZN5aiter14LLGemm1_kernelI6__halfLi4EEEvPKT_S4_PS2_i
	.p2align	8
	.type	_ZN5aiter14LLGemm1_kernelI6__halfLi4EEEvPKT_S4_PS2_i,@function
_ZN5aiter14LLGemm1_kernelI6__halfLi4EEEvPKT_S4_PS2_i: ; @_ZN5aiter14LLGemm1_kernelI6__halfLi4EEEvPKT_S4_PS2_i
; %bb.0:
	s_clause 0x2
	s_load_b32 s2, s[0:1], 0x18
	s_load_b128 s[4:7], s[0:1], 0x0
	s_load_b64 s[8:9], s[0:1], 0x10
	v_lshlrev_b32_e32 v1, 3, v0
                                        ; implicit-def: $vgpr5
                                        ; implicit-def: $vgpr9
                                        ; implicit-def: $vgpr13
	s_waitcnt lgkmcnt(0)
	s_delay_alu instid0(VALU_DEP_1)
	v_cmp_gt_i32_e32 vcc_lo, s2, v1
                                        ; implicit-def: $vgpr1
	s_and_saveexec_b32 s3, vcc_lo
	s_cbranch_execz .LBB3_2
; %bb.1:
	s_mul_i32 s10, s15, s2
	s_mov_b32 s11, 0
	s_bfe_u32 s10, s10, 0x1d0001
	s_delay_alu instid0(SALU_CYCLE_1) | instskip(SKIP_1) | instid1(SALU_CYCLE_1)
	v_dual_mov_b32 v2, 0 :: v_dual_add_nc_u32 v1, s10, v0
	s_lshr_b32 s10, s2, 3
	s_lshl_b64 s[12:13], s[10:11], 4
	s_delay_alu instid0(VALU_DEP_1) | instskip(SKIP_1) | instid1(VALU_DEP_1)
	v_lshlrev_b64 v[3:4], 4, v[1:2]
	v_add3_u32 v1, s10, s10, v1
	v_lshlrev_b64 v[5:6], 4, v[1:2]
	v_add_nc_u32_e32 v1, s10, v1
	s_delay_alu instid0(VALU_DEP_4) | instskip(NEXT) | instid1(VALU_DEP_1)
	v_add_co_u32 v3, s2, s4, v3
	v_add_co_ci_u32_e64 v4, s2, s5, v4, s2
	s_delay_alu instid0(VALU_DEP_3) | instskip(NEXT) | instid1(VALU_DEP_3)
	v_lshlrev_b64 v[1:2], 4, v[1:2]
	v_add_co_u32 v7, s2, v3, s12
	s_delay_alu instid0(VALU_DEP_1) | instskip(SKIP_1) | instid1(VALU_DEP_1)
	v_add_co_ci_u32_e64 v8, s2, s13, v4, s2
	v_add_co_u32 v5, s2, s4, v5
	v_add_co_ci_u32_e64 v6, s2, s5, v6, s2
	v_add_co_u32 v1, s2, s4, v1
	s_delay_alu instid0(VALU_DEP_1)
	v_add_co_ci_u32_e64 v2, s2, s5, v2, s2
	s_clause 0x3
	global_load_b128 v[13:16], v[3:4], off slc dlc
	global_load_b128 v[9:12], v[7:8], off slc dlc
	;; [unrolled: 1-line block ×4, first 2 shown]
.LBB3_2:
	s_or_b32 exec_lo, exec_lo, s3
	s_waitcnt vmcnt(2)
	v_lshrrev_b32_e32 v22, 16, v9
	s_waitcnt vmcnt(0)
	v_lshrrev_b32_e32 v24, 16, v1
	v_lshrrev_b32_e32 v21, 16, v13
	v_cvt_f32_f16_e32 v13, v13
	v_cvt_f32_f16_e32 v9, v9
	;; [unrolled: 1-line block ×3, first 2 shown]
	v_lshlrev_b32_e32 v17, 4, v0
	v_lshrrev_b32_e32 v23, 16, v5
	v_cvt_f32_f16_e32 v5, v5
	v_cvt_f32_f16_e32 v25, v1
	;; [unrolled: 1-line block ×3, first 2 shown]
	global_load_b128 v[17:20], v17, s[6:7]
	v_cvt_f32_f16_e32 v23, v23
	v_cvt_f32_f16_e32 v21, v21
	v_mbcnt_lo_u32_b32 v1, -1, 0
	s_load_b32 s0, s[0:1], 0x2c
	s_mov_b32 s1, exec_lo
	s_delay_alu instid0(VALU_DEP_1) | instskip(NEXT) | instid1(VALU_DEP_1)
	v_xor_b32_e32 v27, 16, v1
	v_cmp_gt_i32_e64 s2, 32, v27
	s_waitcnt vmcnt(0)
	v_lshrrev_b32_e32 v26, 16, v17
	v_cvt_f32_f16_e32 v17, v17
	s_delay_alu instid0(VALU_DEP_2) | instskip(NEXT) | instid1(VALU_DEP_2)
	v_cvt_f32_f16_e32 v26, v26
	v_mul_f32_e32 v13, v17, v13
	v_mul_f32_e32 v9, v17, v9
	;; [unrolled: 1-line block ×3, first 2 shown]
	s_delay_alu instid0(VALU_DEP_4) | instskip(SKIP_2) | instid1(VALU_DEP_4)
	v_dual_mul_f32 v17, v17, v25 :: v_dual_mul_f32 v24, v26, v24
	v_mul_f32_e32 v22, v26, v22
	v_fma_mix_f32 v13, v14, v18, v13 op_sel_hi:[1,1,0]
	v_fma_mix_f32 v5, v6, v18, v5 op_sel_hi:[1,1,0]
	s_delay_alu instid0(VALU_DEP_4) | instskip(SKIP_1) | instid1(VALU_DEP_4)
	v_fma_mix_f32 v17, v2, v18, v17 op_sel_hi:[1,1,0]
	v_fma_mix_f32 v2, v2, v18, v24 op_sel:[1,1,0] op_sel_hi:[1,1,0]
	v_fma_mix_f32 v13, v15, v19, v13 op_sel_hi:[1,1,0]
	s_delay_alu instid0(VALU_DEP_4) | instskip(NEXT) | instid1(VALU_DEP_4)
	v_fma_mix_f32 v5, v7, v19, v5 op_sel_hi:[1,1,0]
	v_fma_mix_f32 v17, v3, v19, v17 op_sel_hi:[1,1,0]
	s_delay_alu instid0(VALU_DEP_4) | instskip(NEXT) | instid1(VALU_DEP_4)
	v_fma_mix_f32 v2, v3, v19, v2 op_sel:[1,1,0] op_sel_hi:[1,1,0]
	v_fma_mix_f32 v13, v16, v20, v13 op_sel_hi:[1,1,0]
	s_delay_alu instid0(VALU_DEP_4) | instskip(NEXT) | instid1(VALU_DEP_4)
	v_fma_mix_f32 v5, v8, v20, v5 op_sel_hi:[1,1,0]
	v_fma_mix_f32 v3, v4, v20, v17 op_sel_hi:[1,1,0]
	s_delay_alu instid0(VALU_DEP_4) | instskip(SKIP_1) | instid1(VALU_DEP_2)
	v_fma_mix_f32 v2, v4, v20, v2 op_sel:[1,1,0] op_sel_hi:[1,1,0]
	v_cndmask_b32_e64 v4, v1, v27, s2
	v_add_f32_e32 v2, v3, v2
	v_fma_mix_f32 v9, v10, v18, v9 op_sel_hi:[1,1,0]
	v_mul_f32_e32 v23, v26, v23
	v_fma_mix_f32 v10, v10, v18, v22 op_sel:[1,1,0] op_sel_hi:[1,1,0]
	s_delay_alu instid0(VALU_DEP_4) | instskip(NEXT) | instid1(VALU_DEP_4)
	v_cndmask_b32_e32 v2, 0, v2, vcc_lo
	v_fma_mix_f32 v9, v11, v19, v9 op_sel_hi:[1,1,0]
	s_delay_alu instid0(VALU_DEP_4) | instskip(NEXT) | instid1(VALU_DEP_4)
	v_fma_mix_f32 v6, v6, v18, v23 op_sel:[1,1,0] op_sel_hi:[1,1,0]
	v_fma_mix_f32 v10, v11, v19, v10 op_sel:[1,1,0] op_sel_hi:[1,1,0]
	s_delay_alu instid0(VALU_DEP_3) | instskip(NEXT) | instid1(VALU_DEP_3)
	v_fma_mix_f32 v9, v12, v20, v9 op_sel_hi:[1,1,0]
	v_fma_mix_f32 v6, v7, v19, v6 op_sel:[1,1,0] op_sel_hi:[1,1,0]
	s_delay_alu instid0(VALU_DEP_3) | instskip(SKIP_1) | instid1(VALU_DEP_3)
	v_fma_mix_f32 v10, v12, v20, v10 op_sel:[1,1,0] op_sel_hi:[1,1,0]
	v_mul_f32_e32 v21, v26, v21
	v_fma_mix_f32 v6, v8, v20, v6 op_sel:[1,1,0] op_sel_hi:[1,1,0]
	s_delay_alu instid0(VALU_DEP_3) | instskip(NEXT) | instid1(VALU_DEP_3)
	v_add_f32_e32 v8, v9, v10
	v_fma_mix_f32 v14, v14, v18, v21 op_sel:[1,1,0] op_sel_hi:[1,1,0]
	v_xor_b32_e32 v10, 8, v1
	v_lshlrev_b32_e32 v3, 2, v4
	s_delay_alu instid0(VALU_DEP_3) | instskip(NEXT) | instid1(VALU_DEP_1)
	v_fma_mix_f32 v14, v15, v19, v14 op_sel:[1,1,0] op_sel_hi:[1,1,0]
	v_fma_mix_f32 v7, v16, v20, v14 op_sel:[1,1,0] op_sel_hi:[1,1,0]
	s_delay_alu instid0(VALU_DEP_1) | instskip(NEXT) | instid1(VALU_DEP_1)
	v_add_f32_e32 v7, v13, v7
	v_cndmask_b32_e32 v4, 0, v7, vcc_lo
	ds_bpermute_b32 v7, v3, v4
	v_dual_add_f32 v5, v5, v6 :: v_dual_cndmask_b32 v6, 0, v8
	s_waitcnt lgkmcnt(0)
	s_delay_alu instid0(VALU_DEP_1)
	v_dual_add_f32 v4, v4, v7 :: v_dual_cndmask_b32 v5, 0, v5
	v_cmp_gt_i32_e32 vcc_lo, 32, v10
	v_cndmask_b32_e32 v10, v1, v10, vcc_lo
	ds_bpermute_b32 v8, v3, v6
	v_lshlrev_b32_e32 v10, 2, v10
	s_waitcnt lgkmcnt(0)
	v_add_f32_e32 v6, v6, v8
	ds_bpermute_b32 v9, v3, v5
	ds_bpermute_b32 v3, v3, v2
	;; [unrolled: 1-line block ×3, first 2 shown]
	s_waitcnt lgkmcnt(1)
	v_dual_add_f32 v5, v5, v9 :: v_dual_add_f32 v2, v2, v3
	ds_bpermute_b32 v3, v10, v4
	ds_bpermute_b32 v8, v10, v5
	;; [unrolled: 1-line block ×3, first 2 shown]
	v_xor_b32_e32 v10, 4, v1
	s_delay_alu instid0(VALU_DEP_1) | instskip(SKIP_2) | instid1(VALU_DEP_1)
	v_cmp_gt_i32_e32 vcc_lo, 32, v10
	s_waitcnt lgkmcnt(2)
	v_dual_cndmask_b32 v10, v1, v10 :: v_dual_add_f32 v3, v4, v3
	v_lshlrev_b32_e32 v10, 2, v10
	s_waitcnt lgkmcnt(1)
	v_dual_add_f32 v4, v6, v7 :: v_dual_add_f32 v5, v5, v8
	ds_bpermute_b32 v6, v10, v3
	ds_bpermute_b32 v8, v10, v5
	s_waitcnt lgkmcnt(1)
	v_dual_add_f32 v2, v2, v9 :: v_dual_add_f32 v3, v3, v6
	ds_bpermute_b32 v7, v10, v4
	s_waitcnt lgkmcnt(1)
	v_add_f32_e32 v5, v5, v8
	ds_bpermute_b32 v9, v10, v2
	v_xor_b32_e32 v10, 2, v1
	s_delay_alu instid0(VALU_DEP_1) | instskip(SKIP_1) | instid1(VALU_DEP_1)
	v_cmp_gt_i32_e32 vcc_lo, 32, v10
	v_cndmask_b32_e32 v10, v1, v10, vcc_lo
	v_lshlrev_b32_e32 v10, 2, v10
	ds_bpermute_b32 v8, v10, v5
	s_waitcnt lgkmcnt(0)
	v_add_f32_e32 v5, v5, v8
	ds_bpermute_b32 v6, v10, v3
	s_waitcnt lgkmcnt(0)
	v_dual_add_f32 v4, v4, v7 :: v_dual_add_f32 v3, v3, v6
	v_add_f32_e32 v2, v2, v9
	ds_bpermute_b32 v7, v10, v4
	ds_bpermute_b32 v9, v10, v2
	v_xor_b32_e32 v10, 1, v1
	s_delay_alu instid0(VALU_DEP_1) | instskip(SKIP_1) | instid1(VALU_DEP_1)
	v_cmp_gt_i32_e32 vcc_lo, 32, v10
	v_cndmask_b32_e32 v10, v1, v10, vcc_lo
	v_lshlrev_b32_e32 v10, 2, v10
	s_waitcnt lgkmcnt(1)
	v_add_f32_e32 v4, v4, v7
	ds_bpermute_b32 v11, v10, v5
	s_waitcnt lgkmcnt(0)
	v_add_f32_e32 v5, v5, v11
	ds_bpermute_b32 v6, v10, v3
	s_waitcnt lgkmcnt(0)
	v_dual_add_f32 v7, v3, v6 :: v_dual_add_f32 v8, v2, v9
	ds_bpermute_b32 v9, v10, v4
	v_and_b32_e32 v2, 31, v0
	ds_bpermute_b32 v10, v10, v8
	s_waitcnt lgkmcnt(1)
	v_add_f32_e32 v6, v4, v9
	s_waitcnt lgkmcnt(0)
	v_add_f32_e32 v4, v8, v10
	v_cmpx_gt_u32_e32 4, v2
	s_cbranch_execz .LBB3_4
; %bb.3:
	v_cmp_eq_u32_e32 vcc_lo, 1, v2
	v_lshrrev_b32_e32 v3, 3, v0
	s_delay_alu instid0(VALU_DEP_1) | instskip(SKIP_1) | instid1(VALU_DEP_2)
	v_dual_cndmask_b32 v8, v7, v6 :: v_dual_and_b32 v3, 0x7c, v3
	v_cmp_eq_u32_e32 vcc_lo, 2, v2
	v_lshl_or_b32 v3, v2, 7, v3
	s_delay_alu instid0(VALU_DEP_3) | instskip(SKIP_1) | instid1(VALU_DEP_2)
	v_cndmask_b32_e32 v8, v8, v5, vcc_lo
	v_cmp_eq_u32_e32 vcc_lo, 3, v2
	v_cndmask_b32_e32 v8, v8, v4, vcc_lo
	ds_store_b32 v3, v8
.LBB3_4:
	s_or_b32 exec_lo, exec_lo, s1
	s_and_b32 s0, 0xffff, s0
	v_cvt_f32_u32_e32 v9, v0
	s_lshr_b32 s2, s0, 5
	s_waitcnt lgkmcnt(0)
	v_cvt_f32_u32_e32 v3, s2
	s_barrier
	buffer_gl0_inv
	s_mov_b32 s1, exec_lo
	v_rcp_iflag_f32_e32 v8, v3
	s_waitcnt_depctr 0xfff
	v_mul_f32_e32 v8, v9, v8
	s_delay_alu instid0(VALU_DEP_1) | instskip(NEXT) | instid1(VALU_DEP_1)
	v_trunc_f32_e32 v8, v8
	v_fma_f32 v9, -v8, v3, v9
	v_cvt_u32_f32_e32 v8, v8
	s_delay_alu instid0(VALU_DEP_2) | instskip(NEXT) | instid1(VALU_DEP_2)
	v_cmp_ge_f32_e64 vcc_lo, |v9|, v3
	v_add_co_ci_u32_e32 v3, vcc_lo, 0, v8, vcc_lo
	s_delay_alu instid0(VALU_DEP_1)
	v_cmpx_gt_u16_e32 4, v3
	s_cbranch_execz .LBB3_10
; %bb.5:
	v_mul_lo_u16 v8, v3, s2
	v_cmp_eq_u16_e32 vcc_lo, 3, v3
	s_cmp_lt_u32 s0, 64
	s_delay_alu instid0(VALU_DEP_2) | instskip(NEXT) | instid1(VALU_DEP_1)
	v_sub_nc_u16 v0, v0, v8
	v_and_b32_e32 v8, 0xffff, v0
	v_and_b32_e32 v0, 0xffff, v3
	s_delay_alu instid0(VALU_DEP_2) | instskip(NEXT) | instid1(VALU_DEP_1)
	v_lshlrev_b32_e32 v8, 2, v8
	v_lshl_add_u32 v8, v0, 7, v8
	ds_load_b32 v8, v8
	s_waitcnt lgkmcnt(0)
	v_cndmask_b32_e32 v4, v4, v8, vcc_lo
	v_cmp_eq_u16_e32 vcc_lo, 2, v3
	v_cndmask_b32_e32 v5, v5, v8, vcc_lo
	v_cmp_eq_u16_e32 vcc_lo, 1, v3
	;; [unrolled: 2-line block ×3, first 2 shown]
	v_cndmask_b32_e32 v7, v7, v8, vcc_lo
	s_cbranch_scc1 .LBB3_8
; %bb.6:
	s_lshr_b32 s3, s0, 6
	.p2align	6
.LBB3_7:                                ; =>This Inner Loop Header: Depth=1
	s_delay_alu instid0(SALU_CYCLE_1) | instskip(SKIP_2) | instid1(VALU_DEP_3)
	v_xor_b32_e32 v9, s3, v1
	v_cmp_eq_u32_e32 vcc_lo, 1, v0
	v_cmp_eq_u32_e64 s0, 2, v0
	v_cmp_gt_i32_e64 s1, 32, v9
	s_delay_alu instid0(VALU_DEP_1) | instskip(SKIP_2) | instid1(VALU_DEP_3)
	v_cndmask_b32_e64 v9, v1, v9, s1
	v_cndmask_b32_e32 v8, v7, v6, vcc_lo
	v_cmp_eq_u32_e64 s1, 3, v0
	v_lshlrev_b32_e32 v9, 2, v9
	s_delay_alu instid0(VALU_DEP_3) | instskip(NEXT) | instid1(VALU_DEP_1)
	v_cndmask_b32_e64 v8, v8, v5, s0
	v_cndmask_b32_e64 v8, v8, v4, s1
	ds_bpermute_b32 v9, v9, v8
	s_waitcnt lgkmcnt(0)
	v_add_f32_e32 v8, v8, v9
	s_delay_alu instid0(VALU_DEP_1)
	v_cndmask_b32_e32 v6, v6, v8, vcc_lo
	v_cmp_eq_u32_e32 vcc_lo, 0, v0
	v_cndmask_b32_e64 v4, v4, v8, s1
	v_cndmask_b32_e64 v5, v5, v8, s0
	s_lshr_b32 s0, s3, 1
	s_cmp_lt_u32 s3, 2
	v_cndmask_b32_e32 v7, v7, v8, vcc_lo
	s_mov_b32 s3, s0
	s_cbranch_scc0 .LBB3_7
.LBB3_8:
	s_lshl_b32 s0, s2, 1
	v_cvt_f32_ubyte0_e32 v10, v2
	v_cvt_f32_u32_e32 v8, s0
	v_cmp_eq_u32_e32 vcc_lo, 1, v0
	s_delay_alu instid0(VALU_DEP_2) | instskip(SKIP_3) | instid1(VALU_DEP_3)
	v_rcp_iflag_f32_e32 v9, v8
	v_cndmask_b32_e32 v6, v7, v6, vcc_lo
	v_xor_b32_e32 v7, s2, v1
	v_cmp_eq_u32_e32 vcc_lo, 2, v0
	v_cndmask_b32_e32 v5, v6, v5, vcc_lo
	s_delay_alu instid0(VALU_DEP_3) | instskip(SKIP_3) | instid1(VALU_DEP_2)
	v_cmp_gt_i32_e32 vcc_lo, 32, v7
	s_waitcnt_depctr 0xfff
	v_mul_f32_e32 v9, v10, v9
	v_cndmask_b32_e32 v1, v1, v7, vcc_lo
	v_trunc_f32_e32 v9, v9
	s_delay_alu instid0(VALU_DEP_2) | instskip(NEXT) | instid1(VALU_DEP_2)
	v_lshlrev_b32_e32 v1, 2, v1
	v_fma_f32 v10, -v9, v8, v10
	v_cvt_u32_f32_e32 v6, v9
	s_delay_alu instid0(VALU_DEP_2) | instskip(NEXT) | instid1(VALU_DEP_2)
	v_cmp_ge_f32_e64 vcc_lo, |v10|, v8
	v_add_co_ci_u32_e32 v6, vcc_lo, 0, v6, vcc_lo
	v_cmp_eq_u32_e32 vcc_lo, 3, v0
	v_cndmask_b32_e32 v0, v5, v4, vcc_lo
	s_delay_alu instid0(VALU_DEP_3) | instskip(SKIP_2) | instid1(VALU_DEP_1)
	v_mul_lo_u32 v4, v6, s0
	ds_bpermute_b32 v1, v1, v0
	v_sub_nc_u32_e32 v2, v2, v4
	v_and_b32_e32 v2, 0xfff, v2
	s_delay_alu instid0(VALU_DEP_1)
	v_cmp_eq_u32_e32 vcc_lo, 0, v2
	s_and_b32 exec_lo, exec_lo, vcc_lo
	s_cbranch_execz .LBB3_10
; %bb.9:
	v_lshrrev_b16 v2, 1, v3
	s_lshl_b32 s0, s15, 1
	v_cvt_f16_f32_e32 v4, v0
	s_waitcnt lgkmcnt(0)
	v_cvt_f16_f32_e32 v5, v1
	v_dual_mov_b32 v3, 0 :: v_dual_and_b32 v2, 0xffff, v2
	s_delay_alu instid0(VALU_DEP_1) | instskip(NEXT) | instid1(VALU_DEP_1)
	v_and_or_b32 v2, 0x7ffffffe, s0, v2
	v_lshlrev_b64 v[0:1], 2, v[2:3]
	s_delay_alu instid0(VALU_DEP_4) | instskip(NEXT) | instid1(VALU_DEP_2)
	v_pack_b32_f16 v2, v4, v5
	v_add_co_u32 v0, vcc_lo, s8, v0
	s_delay_alu instid0(VALU_DEP_3)
	v_add_co_ci_u32_e32 v1, vcc_lo, s9, v1, vcc_lo
	global_store_b32 v[0:1], v2, off
.LBB3_10:
	s_nop 0
	s_sendmsg sendmsg(MSG_DEALLOC_VGPRS)
	s_endpgm
	.section	.rodata,"a",@progbits
	.p2align	6, 0x0
	.amdhsa_kernel _ZN5aiter14LLGemm1_kernelI6__halfLi4EEEvPKT_S4_PS2_i
		.amdhsa_group_segment_fixed_size 512
		.amdhsa_private_segment_fixed_size 0
		.amdhsa_kernarg_size 288
		.amdhsa_user_sgpr_count 15
		.amdhsa_user_sgpr_dispatch_ptr 0
		.amdhsa_user_sgpr_queue_ptr 0
		.amdhsa_user_sgpr_kernarg_segment_ptr 1
		.amdhsa_user_sgpr_dispatch_id 0
		.amdhsa_user_sgpr_private_segment_size 0
		.amdhsa_wavefront_size32 1
		.amdhsa_uses_dynamic_stack 0
		.amdhsa_enable_private_segment 0
		.amdhsa_system_sgpr_workgroup_id_x 1
		.amdhsa_system_sgpr_workgroup_id_y 0
		.amdhsa_system_sgpr_workgroup_id_z 0
		.amdhsa_system_sgpr_workgroup_info 0
		.amdhsa_system_vgpr_workitem_id 0
		.amdhsa_next_free_vgpr 28
		.amdhsa_next_free_sgpr 16
		.amdhsa_reserve_vcc 1
		.amdhsa_float_round_mode_32 0
		.amdhsa_float_round_mode_16_64 0
		.amdhsa_float_denorm_mode_32 3
		.amdhsa_float_denorm_mode_16_64 3
		.amdhsa_dx10_clamp 1
		.amdhsa_ieee_mode 1
		.amdhsa_fp16_overflow 0
		.amdhsa_workgroup_processor_mode 1
		.amdhsa_memory_ordered 1
		.amdhsa_forward_progress 0
		.amdhsa_shared_vgpr_count 0
		.amdhsa_exception_fp_ieee_invalid_op 0
		.amdhsa_exception_fp_denorm_src 0
		.amdhsa_exception_fp_ieee_div_zero 0
		.amdhsa_exception_fp_ieee_overflow 0
		.amdhsa_exception_fp_ieee_underflow 0
		.amdhsa_exception_fp_ieee_inexact 0
		.amdhsa_exception_int_div_zero 0
	.end_amdhsa_kernel
	.section	.text._ZN5aiter14LLGemm1_kernelI6__halfLi4EEEvPKT_S4_PS2_i,"axG",@progbits,_ZN5aiter14LLGemm1_kernelI6__halfLi4EEEvPKT_S4_PS2_i,comdat
.Lfunc_end3:
	.size	_ZN5aiter14LLGemm1_kernelI6__halfLi4EEEvPKT_S4_PS2_i, .Lfunc_end3-_ZN5aiter14LLGemm1_kernelI6__halfLi4EEEvPKT_S4_PS2_i
                                        ; -- End function
	.section	.AMDGPU.csdata,"",@progbits
; Kernel info:
; codeLenInByte = 1756
; NumSgprs: 18
; NumVgprs: 28
; ScratchSize: 0
; MemoryBound: 0
; FloatMode: 240
; IeeeMode: 1
; LDSByteSize: 512 bytes/workgroup (compile time only)
; SGPRBlocks: 2
; VGPRBlocks: 3
; NumSGPRsForWavesPerEU: 18
; NumVGPRsForWavesPerEU: 28
; Occupancy: 16
; WaveLimiterHint : 0
; COMPUTE_PGM_RSRC2:SCRATCH_EN: 0
; COMPUTE_PGM_RSRC2:USER_SGPR: 15
; COMPUTE_PGM_RSRC2:TRAP_HANDLER: 0
; COMPUTE_PGM_RSRC2:TGID_X_EN: 1
; COMPUTE_PGM_RSRC2:TGID_Y_EN: 0
; COMPUTE_PGM_RSRC2:TGID_Z_EN: 0
; COMPUTE_PGM_RSRC2:TIDIG_COMP_CNT: 0
	.section	.text._ZN5aiter14LLGemm1_kernelI6__halfLi8EEEvPKT_S4_PS2_i,"axG",@progbits,_ZN5aiter14LLGemm1_kernelI6__halfLi8EEEvPKT_S4_PS2_i,comdat
	.protected	_ZN5aiter14LLGemm1_kernelI6__halfLi8EEEvPKT_S4_PS2_i ; -- Begin function _ZN5aiter14LLGemm1_kernelI6__halfLi8EEEvPKT_S4_PS2_i
	.globl	_ZN5aiter14LLGemm1_kernelI6__halfLi8EEEvPKT_S4_PS2_i
	.p2align	8
	.type	_ZN5aiter14LLGemm1_kernelI6__halfLi8EEEvPKT_S4_PS2_i,@function
_ZN5aiter14LLGemm1_kernelI6__halfLi8EEEvPKT_S4_PS2_i: ; @_ZN5aiter14LLGemm1_kernelI6__halfLi8EEEvPKT_S4_PS2_i
; %bb.0:
	s_clause 0x2
	s_load_b32 s2, s[0:1], 0x18
	s_load_b128 s[4:7], s[0:1], 0x0
	s_load_b64 s[8:9], s[0:1], 0x10
	v_lshlrev_b32_e32 v1, 3, v0
                                        ; implicit-def: $vgpr5
                                        ; implicit-def: $vgpr9
                                        ; implicit-def: $vgpr13
                                        ; implicit-def: $vgpr17
                                        ; implicit-def: $vgpr21
                                        ; implicit-def: $vgpr25
                                        ; implicit-def: $vgpr29
	s_waitcnt lgkmcnt(0)
	s_delay_alu instid0(VALU_DEP_1)
	v_cmp_gt_i32_e32 vcc_lo, s2, v1
                                        ; implicit-def: $vgpr1
	s_and_saveexec_b32 s3, vcc_lo
	s_cbranch_execz .LBB4_2
; %bb.1:
	s_mul_i32 s10, s15, s2
	s_mov_b32 s11, 0
	s_and_b32 s10, s10, 0x1fffffff
	s_delay_alu instid0(SALU_CYCLE_1) | instskip(SKIP_1) | instid1(SALU_CYCLE_1)
	v_dual_mov_b32 v2, 0 :: v_dual_add_nc_u32 v1, s10, v0
	s_lshr_b32 s10, s2, 3
	s_lshl_b64 s[12:13], s[10:11], 4
	s_delay_alu instid0(VALU_DEP_1) | instskip(SKIP_1) | instid1(VALU_DEP_1)
	v_lshlrev_b64 v[3:4], 4, v[1:2]
	v_add3_u32 v1, s10, s10, v1
	v_lshlrev_b64 v[5:6], 4, v[1:2]
	v_add_nc_u32_e32 v1, s10, v1
	s_delay_alu instid0(VALU_DEP_4) | instskip(NEXT) | instid1(VALU_DEP_1)
	v_add_co_u32 v3, s2, s4, v3
	v_add_co_ci_u32_e64 v4, s2, s5, v4, s2
	s_delay_alu instid0(VALU_DEP_3) | instskip(SKIP_1) | instid1(VALU_DEP_4)
	v_lshlrev_b64 v[7:8], 4, v[1:2]
	v_add_nc_u32_e32 v1, s10, v1
	v_add_co_u32 v9, s2, v3, s12
	s_delay_alu instid0(VALU_DEP_1) | instskip(NEXT) | instid1(VALU_DEP_3)
	v_add_co_ci_u32_e64 v10, s2, s13, v4, s2
	v_lshlrev_b64 v[11:12], 4, v[1:2]
	v_add_nc_u32_e32 v1, s10, v1
	v_add_co_u32 v5, s2, s4, v5
	s_delay_alu instid0(VALU_DEP_1) | instskip(NEXT) | instid1(VALU_DEP_3)
	v_add_co_ci_u32_e64 v6, s2, s5, v6, s2
	;; [unrolled: 5-line block ×3, first 2 shown]
	v_lshlrev_b64 v[15:16], 4, v[1:2]
	v_add_nc_u32_e32 v1, s10, v1
	v_add_co_u32 v11, s2, s4, v11
	s_delay_alu instid0(VALU_DEP_1) | instskip(SKIP_1) | instid1(VALU_DEP_4)
	v_add_co_ci_u32_e64 v12, s2, s5, v12, s2
	v_add_co_u32 v33, s2, s4, v13
	v_lshlrev_b64 v[1:2], 4, v[1:2]
	v_add_co_ci_u32_e64 v34, s2, s5, v14, s2
	v_add_co_u32 v35, s2, s4, v15
	s_delay_alu instid0(VALU_DEP_1) | instskip(NEXT) | instid1(VALU_DEP_4)
	v_add_co_ci_u32_e64 v36, s2, s5, v16, s2
	v_add_co_u32 v1, s2, s4, v1
	s_delay_alu instid0(VALU_DEP_1)
	v_add_co_ci_u32_e64 v2, s2, s5, v2, s2
	s_clause 0x7
	global_load_b128 v[29:32], v[3:4], off slc dlc
	global_load_b128 v[25:28], v[9:10], off slc dlc
	;; [unrolled: 1-line block ×8, first 2 shown]
.LBB4_2:
	s_or_b32 exec_lo, exec_lo, s3
	s_waitcnt vmcnt(5)
	v_lshrrev_b32_e32 v39, 16, v21
	s_waitcnt vmcnt(1)
	v_lshrrev_b32_e32 v43, 16, v5
	v_cvt_f32_f16_e32 v44, v5
	v_mbcnt_lo_u32_b32 v5, -1, 0
	v_lshrrev_b32_e32 v37, 16, v29
	v_cvt_f32_f16_e32 v39, v39
	v_lshlrev_b32_e32 v33, 4, v0
	v_cvt_f32_f16_e32 v29, v29
	v_xor_b32_e32 v46, 16, v5
	v_lshrrev_b32_e32 v38, 16, v25
	v_lshrrev_b32_e32 v40, 16, v17
	global_load_b128 v[33:36], v33, s[6:7]
	v_lshrrev_b32_e32 v41, 16, v13
	v_cmp_gt_i32_e64 s2, 32, v46
	v_lshrrev_b32_e32 v42, 16, v9
	v_cvt_f32_f16_e32 v25, v25
	v_cvt_f32_f16_e32 v21, v21
	;; [unrolled: 1-line block ×3, first 2 shown]
	v_cndmask_b32_e64 v46, v5, v46, s2
	v_cvt_f32_f16_e32 v13, v13
	v_cvt_f32_f16_e32 v9, v9
	s_waitcnt vmcnt(1)
	v_lshrrev_b32_e32 v45, 16, v1
	v_cvt_f32_f16_e32 v1, v1
	v_cvt_f32_f16_e32 v37, v37
	;; [unrolled: 1-line block ×8, first 2 shown]
	s_load_b32 s0, s[0:1], 0x2c
	s_mov_b32 s1, exec_lo
	s_waitcnt vmcnt(0)
	v_lshrrev_b32_e32 v47, 16, v33
	v_cvt_f32_f16_e32 v33, v33
	v_lshlrev_b32_e32 v46, 2, v46
	s_delay_alu instid0(VALU_DEP_3) | instskip(NEXT) | instid1(VALU_DEP_3)
	v_cvt_f32_f16_e32 v47, v47
	v_mul_f32_e32 v29, v33, v29
	v_mul_f32_e32 v25, v33, v25
	v_mul_f32_e32 v21, v33, v21
	v_mul_f32_e32 v17, v33, v17
	v_mul_f32_e32 v13, v33, v13
	v_fma_mix_f32 v29, v30, v34, v29 op_sel_hi:[1,1,0]
	v_mul_f32_e32 v9, v33, v9
	v_mul_f32_e32 v44, v33, v44
	;; [unrolled: 1-line block ×4, first 2 shown]
	v_fma_mix_f32 v29, v31, v35, v29 op_sel_hi:[1,1,0]
	v_mul_f32_e32 v37, v47, v38
	v_mul_f32_e32 v38, v47, v39
	;; [unrolled: 1-line block ×3, first 2 shown]
	v_fma_mix_f32 v30, v30, v34, v33 op_sel:[1,1,0] op_sel_hi:[1,1,0]
	v_fma_mix_f32 v29, v32, v36, v29 op_sel_hi:[1,1,0]
	v_mul_f32_e32 v40, v47, v41
	v_mul_f32_e32 v41, v47, v42
	v_mul_f32_e32 v42, v47, v43
	v_fma_mix_f32 v43, v6, v34, v44 op_sel_hi:[1,1,0]
	v_mul_f32_e32 v44, v47, v45
	v_fma_mix_f32 v30, v31, v35, v30 op_sel:[1,1,0] op_sel_hi:[1,1,0]
	v_fma_mix_f32 v13, v14, v34, v13 op_sel_hi:[1,1,0]
	v_fma_mix_f32 v6, v6, v34, v42 op_sel:[1,1,0] op_sel_hi:[1,1,0]
	v_fma_mix_f32 v33, v7, v35, v43 op_sel_hi:[1,1,0]
	v_fma_mix_f32 v9, v10, v34, v9 op_sel_hi:[1,1,0]
	v_fma_mix_f32 v10, v10, v34, v41 op_sel:[1,1,0] op_sel_hi:[1,1,0]
	v_fma_mix_f32 v13, v15, v35, v13 op_sel_hi:[1,1,0]
	v_fma_mix_f32 v6, v7, v35, v6 op_sel:[1,1,0] op_sel_hi:[1,1,0]
	v_fma_mix_f32 v7, v8, v36, v33 op_sel_hi:[1,1,0]
	v_fma_mix_f32 v25, v26, v34, v25 op_sel_hi:[1,1,0]
	v_fma_mix_f32 v26, v26, v34, v37 op_sel:[1,1,0] op_sel_hi:[1,1,0]
	v_fma_mix_f32 v9, v11, v35, v9 op_sel_hi:[1,1,0]
	v_fma_mix_f32 v6, v8, v36, v6 op_sel:[1,1,0] op_sel_hi:[1,1,0]
	;; [unrolled: 2-line block ×4, first 2 shown]
	v_add_f32_e32 v6, v7, v6
	v_fma_mix_f32 v21, v22, v34, v21 op_sel_hi:[1,1,0]
	v_fma_mix_f32 v22, v22, v34, v38 op_sel:[1,1,0] op_sel_hi:[1,1,0]
	v_fma_mix_f32 v9, v12, v36, v9 op_sel_hi:[1,1,0]
	v_fma_mix_f32 v10, v12, v36, v10 op_sel:[1,1,0] op_sel_hi:[1,1,0]
	v_cndmask_b32_e32 v6, 0, v6, vcc_lo
	v_fma_mix_f32 v1, v2, v34, v1 op_sel_hi:[1,1,0]
	v_fma_mix_f32 v2, v2, v34, v44 op_sel:[1,1,0] op_sel_hi:[1,1,0]
	v_fma_mix_f32 v21, v23, v35, v21 op_sel_hi:[1,1,0]
	v_fma_mix_f32 v22, v23, v35, v22 op_sel:[1,1,0] op_sel_hi:[1,1,0]
	v_fma_mix_f32 v25, v28, v36, v25 op_sel_hi:[1,1,0]
	v_fma_mix_f32 v1, v3, v35, v1 op_sel_hi:[1,1,0]
	v_fma_mix_f32 v2, v3, v35, v2 op_sel:[1,1,0] op_sel_hi:[1,1,0]
	v_fma_mix_f32 v3, v32, v36, v30 op_sel:[1,1,0] op_sel_hi:[1,1,0]
	v_fma_mix_f32 v21, v24, v36, v21 op_sel_hi:[1,1,0]
	v_fma_mix_f32 v11, v28, v36, v26 op_sel:[1,1,0] op_sel_hi:[1,1,0]
	v_fma_mix_f32 v1, v4, v36, v1 op_sel_hi:[1,1,0]
	v_fma_mix_f32 v2, v4, v36, v2 op_sel:[1,1,0] op_sel_hi:[1,1,0]
	v_add_f32_e32 v3, v29, v3
	v_fma_mix_f32 v14, v14, v34, v40 op_sel:[1,1,0] op_sel_hi:[1,1,0]
	v_add_f32_e32 v4, v25, v11
	s_delay_alu instid0(VALU_DEP_3) | instskip(NEXT) | instid1(VALU_DEP_3)
	v_dual_add_f32 v1, v1, v2 :: v_dual_cndmask_b32 v2, 0, v3
	v_fma_mix_f32 v14, v15, v35, v14 op_sel:[1,1,0] op_sel_hi:[1,1,0]
	v_fma_mix_f32 v15, v24, v36, v22 op_sel:[1,1,0] op_sel_hi:[1,1,0]
	v_fma_mix_f32 v17, v18, v34, v17 op_sel_hi:[1,1,0]
	v_cndmask_b32_e32 v3, 0, v4, vcc_lo
	s_delay_alu instid0(VALU_DEP_4) | instskip(NEXT) | instid1(VALU_DEP_4)
	v_fma_mix_f32 v14, v16, v36, v14 op_sel:[1,1,0] op_sel_hi:[1,1,0]
	v_add_f32_e32 v8, v21, v15
	v_fma_mix_f32 v18, v18, v34, v39 op_sel:[1,1,0] op_sel_hi:[1,1,0]
	ds_bpermute_b32 v16, v46, v6
	v_fma_mix_f32 v17, v19, v35, v17 op_sel_hi:[1,1,0]
	v_add_f32_e32 v9, v9, v10
	ds_bpermute_b32 v10, v46, v2
	v_fma_mix_f32 v18, v19, v35, v18 op_sel:[1,1,0] op_sel_hi:[1,1,0]
	v_add_f32_e32 v12, v13, v14
	v_fma_mix_f32 v17, v20, v36, v17 op_sel_hi:[1,1,0]
	v_dual_cndmask_b32 v4, 0, v8 :: v_dual_cndmask_b32 v1, 0, v1
	s_delay_alu instid0(VALU_DEP_4) | instskip(NEXT) | instid1(VALU_DEP_4)
	v_fma_mix_f32 v18, v20, v36, v18 op_sel:[1,1,0] op_sel_hi:[1,1,0]
	v_cndmask_b32_e32 v8, 0, v12, vcc_lo
	ds_bpermute_b32 v12, v46, v4
	v_add_f32_e32 v11, v17, v18
	v_xor_b32_e32 v18, 8, v5
	ds_bpermute_b32 v14, v46, v8
	s_waitcnt lgkmcnt(0)
	v_dual_cndmask_b32 v7, 0, v11 :: v_dual_add_f32 v6, v6, v16
	v_cndmask_b32_e32 v9, 0, v9, vcc_lo
	v_cmp_gt_i32_e32 vcc_lo, 32, v18
	ds_bpermute_b32 v11, v46, v3
	v_add_f32_e32 v2, v2, v10
	ds_bpermute_b32 v17, v46, v1
	v_cndmask_b32_e32 v18, v5, v18, vcc_lo
	ds_bpermute_b32 v13, v46, v7
	v_lshlrev_b32_e32 v18, 2, v18
	ds_bpermute_b32 v15, v46, v9
	v_add_f32_e32 v4, v4, v12
	v_add_f32_e32 v8, v8, v14
	ds_bpermute_b32 v10, v18, v2
	ds_bpermute_b32 v16, v18, v6
	;; [unrolled: 1-line block ×4, first 2 shown]
	s_waitcnt lgkmcnt(7)
	v_add_f32_e32 v3, v3, v11
	s_waitcnt lgkmcnt(6)
	v_add_f32_e32 v1, v1, v17
	;; [unrolled: 2-line block ×3, first 2 shown]
	ds_bpermute_b32 v11, v18, v3
	s_waitcnt lgkmcnt(5)
	v_add_f32_e32 v9, v9, v15
	ds_bpermute_b32 v13, v18, v7
	s_waitcnt lgkmcnt(5)
	v_add_f32_e32 v2, v2, v10
	ds_bpermute_b32 v15, v18, v9
	ds_bpermute_b32 v17, v18, v1
	v_xor_b32_e32 v18, 4, v5
	s_waitcnt lgkmcnt(5)
	v_add_f32_e32 v4, v4, v12
	s_waitcnt lgkmcnt(4)
	v_add_f32_e32 v8, v8, v14
	v_add_f32_e32 v6, v6, v16
	v_cmp_gt_i32_e32 vcc_lo, 32, v18
	s_waitcnt lgkmcnt(3)
	v_dual_add_f32 v3, v3, v11 :: v_dual_cndmask_b32 v18, v5, v18
	s_waitcnt lgkmcnt(2)
	s_delay_alu instid0(VALU_DEP_1)
	v_dual_add_f32 v7, v7, v13 :: v_dual_lshlrev_b32 v18, 2, v18
	s_waitcnt lgkmcnt(1)
	v_add_f32_e32 v9, v9, v15
	ds_bpermute_b32 v10, v18, v2
	s_waitcnt lgkmcnt(1)
	v_add_f32_e32 v1, v1, v17
	ds_bpermute_b32 v11, v18, v3
	ds_bpermute_b32 v12, v18, v4
	;; [unrolled: 1-line block ×6, first 2 shown]
	s_waitcnt lgkmcnt(6)
	v_add_f32_e32 v2, v2, v10
	ds_bpermute_b32 v17, v18, v1
	v_xor_b32_e32 v18, 2, v5
	s_waitcnt lgkmcnt(5)
	v_dual_add_f32 v3, v3, v11 :: v_dual_add_f32 v4, v4, v12
	s_waitcnt lgkmcnt(4)
	v_add_f32_e32 v7, v7, v13
	v_cmp_gt_i32_e32 vcc_lo, 32, v18
	s_waitcnt lgkmcnt(1)
	v_add_f32_e32 v6, v6, v16
	v_cndmask_b32_e32 v18, v5, v18, vcc_lo
	s_delay_alu instid0(VALU_DEP_1)
	v_lshlrev_b32_e32 v18, 2, v18
	v_dual_add_f32 v8, v8, v14 :: v_dual_add_f32 v9, v9, v15
	s_waitcnt lgkmcnt(0)
	v_add_f32_e32 v1, v1, v17
	ds_bpermute_b32 v11, v18, v3
	ds_bpermute_b32 v12, v18, v4
	;; [unrolled: 1-line block ×8, first 2 shown]
	v_xor_b32_e32 v18, 1, v5
	s_delay_alu instid0(VALU_DEP_1)
	v_cmp_gt_i32_e32 vcc_lo, 32, v18
	s_waitcnt lgkmcnt(7)
	v_dual_cndmask_b32 v18, v5, v18 :: v_dual_add_f32 v3, v3, v11
	s_waitcnt lgkmcnt(6)
	v_add_f32_e32 v4, v4, v12
	s_waitcnt lgkmcnt(5)
	v_add_f32_e32 v2, v2, v10
	s_waitcnt lgkmcnt(4)
	v_dual_add_f32 v7, v7, v13 :: v_dual_lshlrev_b32 v18, 2, v18
	s_waitcnt lgkmcnt(2)
	v_dual_add_f32 v13, v9, v15 :: v_dual_add_f32 v12, v8, v14
	s_waitcnt lgkmcnt(0)
	v_add_f32_e32 v15, v1, v17
	v_and_b32_e32 v1, 31, v0
	ds_bpermute_b32 v9, v18, v4
	v_add_f32_e32 v14, v6, v16
	ds_bpermute_b32 v6, v18, v2
	ds_bpermute_b32 v8, v18, v3
	;; [unrolled: 1-line block ×5, first 2 shown]
	s_waitcnt lgkmcnt(5)
	v_add_f32_e32 v9, v4, v9
	ds_bpermute_b32 v20, v18, v14
	ds_bpermute_b32 v18, v18, v15
	s_waitcnt lgkmcnt(5)
	v_dual_add_f32 v11, v2, v6 :: v_dual_add_f32 v10, v3, v8
	s_waitcnt lgkmcnt(3)
	v_dual_add_f32 v8, v7, v16 :: v_dual_add_f32 v7, v12, v17
	s_waitcnt lgkmcnt(2)
	v_add_f32_e32 v6, v13, v19
	s_waitcnt lgkmcnt(0)
	v_dual_add_f32 v4, v14, v20 :: v_dual_add_f32 v3, v15, v18
	v_cmpx_gt_u32_e32 8, v1
	s_cbranch_execz .LBB4_4
; %bb.3:
	v_cmp_eq_u32_e32 vcc_lo, 1, v1
	v_lshrrev_b32_e32 v12, 3, v0
	v_cndmask_b32_e32 v2, v11, v10, vcc_lo
	v_cmp_eq_u32_e32 vcc_lo, 2, v1
	s_delay_alu instid0(VALU_DEP_3) | instskip(NEXT) | instid1(VALU_DEP_3)
	v_and_b32_e32 v12, 0x7c, v12
	v_cndmask_b32_e32 v2, v2, v9, vcc_lo
	v_cmp_eq_u32_e32 vcc_lo, 3, v1
	s_delay_alu instid0(VALU_DEP_3) | instskip(NEXT) | instid1(VALU_DEP_3)
	v_lshl_or_b32 v12, v1, 7, v12
	v_cndmask_b32_e32 v2, v2, v8, vcc_lo
	v_cmp_eq_u32_e32 vcc_lo, 4, v1
	s_delay_alu instid0(VALU_DEP_2) | instskip(SKIP_1) | instid1(VALU_DEP_2)
	v_cndmask_b32_e32 v2, v2, v7, vcc_lo
	v_cmp_eq_u32_e32 vcc_lo, 5, v1
	v_cndmask_b32_e32 v2, v2, v6, vcc_lo
	v_cmp_eq_u32_e32 vcc_lo, 6, v1
	s_delay_alu instid0(VALU_DEP_2) | instskip(SKIP_1) | instid1(VALU_DEP_2)
	v_cndmask_b32_e32 v2, v2, v4, vcc_lo
	v_cmp_eq_u32_e32 vcc_lo, 7, v1
	v_cndmask_b32_e32 v2, v2, v3, vcc_lo
	ds_store_b32 v12, v2
.LBB4_4:
	s_or_b32 exec_lo, exec_lo, s1
	s_and_b32 s0, 0xffff, s0
	v_cvt_f32_u32_e32 v13, v0
	s_lshr_b32 s6, s0, 5
	s_waitcnt lgkmcnt(0)
	v_cvt_f32_u32_e32 v2, s6
	s_barrier
	buffer_gl0_inv
	s_mov_b32 s1, exec_lo
	v_rcp_iflag_f32_e32 v12, v2
	s_waitcnt_depctr 0xfff
	v_mul_f32_e32 v12, v13, v12
	s_delay_alu instid0(VALU_DEP_1) | instskip(NEXT) | instid1(VALU_DEP_1)
	v_trunc_f32_e32 v12, v12
	v_fma_f32 v13, -v12, v2, v13
	v_cvt_u32_f32_e32 v12, v12
	s_delay_alu instid0(VALU_DEP_2) | instskip(NEXT) | instid1(VALU_DEP_2)
	v_cmp_ge_f32_e64 vcc_lo, |v13|, v2
	v_add_co_ci_u32_e32 v2, vcc_lo, 0, v12, vcc_lo
	s_delay_alu instid0(VALU_DEP_1)
	v_cmpx_gt_u16_e32 8, v2
	s_cbranch_execz .LBB4_10
; %bb.5:
	v_mul_lo_u16 v12, v2, s6
	v_cmp_eq_u16_e32 vcc_lo, 7, v2
	s_cmp_lt_u32 s0, 64
	s_delay_alu instid0(VALU_DEP_2) | instskip(NEXT) | instid1(VALU_DEP_1)
	v_sub_nc_u16 v0, v0, v12
	v_and_b32_e32 v12, 0xffff, v0
	v_and_b32_e32 v0, 0xffff, v2
	s_delay_alu instid0(VALU_DEP_2) | instskip(NEXT) | instid1(VALU_DEP_1)
	v_lshlrev_b32_e32 v12, 2, v12
	v_lshl_add_u32 v12, v0, 7, v12
	ds_load_b32 v12, v12
	s_waitcnt lgkmcnt(0)
	v_cndmask_b32_e32 v3, v3, v12, vcc_lo
	v_cmp_eq_u16_e32 vcc_lo, 6, v2
	v_cndmask_b32_e32 v4, v4, v12, vcc_lo
	v_cmp_eq_u16_e32 vcc_lo, 5, v2
	;; [unrolled: 2-line block ×7, first 2 shown]
	v_cndmask_b32_e32 v11, v11, v12, vcc_lo
	s_cbranch_scc1 .LBB4_8
; %bb.6:
	s_lshr_b32 s7, s0, 6
.LBB4_7:                                ; =>This Inner Loop Header: Depth=1
	s_delay_alu instid0(SALU_CYCLE_1)
	v_xor_b32_e32 v13, s7, v5
	v_cmp_eq_u32_e32 vcc_lo, 1, v0
	v_cmp_eq_u32_e64 s0, 2, v0
	v_cmp_eq_u32_e64 s1, 3, v0
	;; [unrolled: 1-line block ×3, first 2 shown]
	v_cmp_gt_i32_e64 s4, 32, v13
	v_cmp_eq_u32_e64 s3, 5, v0
	v_cmp_eq_u32_e64 s5, 7, v0
	s_delay_alu instid0(VALU_DEP_3) | instskip(SKIP_2) | instid1(VALU_DEP_3)
	v_cndmask_b32_e64 v13, v5, v13, s4
	v_cndmask_b32_e32 v12, v11, v10, vcc_lo
	v_cmp_eq_u32_e64 s4, 6, v0
	v_lshlrev_b32_e32 v13, 2, v13
	s_delay_alu instid0(VALU_DEP_3) | instskip(NEXT) | instid1(VALU_DEP_1)
	v_cndmask_b32_e64 v12, v12, v9, s0
	v_cndmask_b32_e64 v12, v12, v8, s1
	s_delay_alu instid0(VALU_DEP_1) | instskip(NEXT) | instid1(VALU_DEP_1)
	v_cndmask_b32_e64 v12, v12, v7, s2
	v_cndmask_b32_e64 v12, v12, v6, s3
	s_delay_alu instid0(VALU_DEP_1) | instskip(NEXT) | instid1(VALU_DEP_1)
	v_cndmask_b32_e64 v12, v12, v4, s4
	v_cndmask_b32_e64 v12, v12, v3, s5
	ds_bpermute_b32 v13, v13, v12
	s_waitcnt lgkmcnt(0)
	v_add_f32_e32 v12, v12, v13
	s_delay_alu instid0(VALU_DEP_1)
	v_cndmask_b32_e32 v10, v10, v12, vcc_lo
	v_cmp_eq_u32_e32 vcc_lo, 0, v0
	v_cndmask_b32_e64 v3, v3, v12, s5
	v_cndmask_b32_e64 v4, v4, v12, s4
	;; [unrolled: 1-line block ×6, first 2 shown]
	v_cndmask_b32_e32 v11, v11, v12, vcc_lo
	s_lshr_b32 s0, s7, 1
	s_cmp_lt_u32 s7, 2
	s_mov_b32 s7, s0
	s_cbranch_scc0 .LBB4_7
.LBB4_8:
	s_lshl_b32 s0, s6, 1
	v_cmp_eq_u32_e32 vcc_lo, 1, v0
	v_cvt_f32_u32_e32 v12, s0
	v_cndmask_b32_e32 v10, v11, v10, vcc_lo
	s_delay_alu instid0(VALU_DEP_2) | instskip(SKIP_1) | instid1(VALU_DEP_2)
	v_rcp_iflag_f32_e32 v11, v12
	v_cmp_eq_u32_e32 vcc_lo, 2, v0
	v_cndmask_b32_e32 v9, v10, v9, vcc_lo
	v_cvt_f32_ubyte0_e32 v10, v1
	v_cmp_eq_u32_e32 vcc_lo, 3, v0
	s_waitcnt_depctr 0xfff
	v_dual_cndmask_b32 v8, v9, v8 :: v_dual_mul_f32 v9, v10, v11
	v_cmp_eq_u32_e32 vcc_lo, 4, v0
	s_delay_alu instid0(VALU_DEP_2) | instskip(NEXT) | instid1(VALU_DEP_3)
	v_cndmask_b32_e32 v7, v8, v7, vcc_lo
	v_trunc_f32_e32 v8, v9
	v_xor_b32_e32 v9, s6, v5
	v_cmp_eq_u32_e32 vcc_lo, 5, v0
	s_delay_alu instid0(VALU_DEP_4) | instskip(NEXT) | instid1(VALU_DEP_3)
	v_cndmask_b32_e32 v6, v7, v6, vcc_lo
	v_cmp_gt_i32_e32 vcc_lo, 32, v9
	v_fma_f32 v7, -v8, v12, v10
	v_cvt_u32_f32_e32 v8, v8
	v_cndmask_b32_e32 v5, v5, v9, vcc_lo
	v_cmp_eq_u32_e32 vcc_lo, 6, v0
	v_cndmask_b32_e32 v4, v6, v4, vcc_lo
	v_cmp_ge_f32_e64 vcc_lo, |v7|, v12
	v_add_co_ci_u32_e32 v6, vcc_lo, 0, v8, vcc_lo
	v_cmp_eq_u32_e32 vcc_lo, 7, v0
	s_delay_alu instid0(VALU_DEP_4) | instskip(NEXT) | instid1(VALU_DEP_3)
	v_dual_cndmask_b32 v0, v4, v3 :: v_dual_lshlrev_b32 v3, 2, v5
	v_mul_lo_u32 v4, v6, s0
	ds_bpermute_b32 v3, v3, v0
	v_sub_nc_u32_e32 v1, v1, v4
	s_delay_alu instid0(VALU_DEP_1) | instskip(NEXT) | instid1(VALU_DEP_1)
	v_and_b32_e32 v1, 0xfff, v1
	v_cmp_eq_u32_e32 vcc_lo, 0, v1
	s_and_b32 exec_lo, exec_lo, vcc_lo
	s_cbranch_execz .LBB4_10
; %bb.9:
	v_lshrrev_b16 v1, 1, v2
	s_lshl_b32 s0, s15, 2
	v_cvt_f16_f32_e32 v4, v0
	s_waitcnt lgkmcnt(0)
	v_cvt_f16_f32_e32 v3, v3
	v_dual_mov_b32 v2, 0 :: v_dual_and_b32 v1, 0xffff, v1
	s_delay_alu instid0(VALU_DEP_1) | instskip(NEXT) | instid1(VALU_DEP_1)
	v_and_or_b32 v1, 0x7ffffffc, s0, v1
	v_lshlrev_b64 v[0:1], 2, v[1:2]
	s_delay_alu instid0(VALU_DEP_4) | instskip(NEXT) | instid1(VALU_DEP_2)
	v_pack_b32_f16 v2, v4, v3
	v_add_co_u32 v0, vcc_lo, s8, v0
	s_delay_alu instid0(VALU_DEP_3)
	v_add_co_ci_u32_e32 v1, vcc_lo, s9, v1, vcc_lo
	global_store_b32 v[0:1], v2, off
.LBB4_10:
	s_nop 0
	s_sendmsg sendmsg(MSG_DEALLOC_VGPRS)
	s_endpgm
	.section	.rodata,"a",@progbits
	.p2align	6, 0x0
	.amdhsa_kernel _ZN5aiter14LLGemm1_kernelI6__halfLi8EEEvPKT_S4_PS2_i
		.amdhsa_group_segment_fixed_size 1024
		.amdhsa_private_segment_fixed_size 0
		.amdhsa_kernarg_size 288
		.amdhsa_user_sgpr_count 15
		.amdhsa_user_sgpr_dispatch_ptr 0
		.amdhsa_user_sgpr_queue_ptr 0
		.amdhsa_user_sgpr_kernarg_segment_ptr 1
		.amdhsa_user_sgpr_dispatch_id 0
		.amdhsa_user_sgpr_private_segment_size 0
		.amdhsa_wavefront_size32 1
		.amdhsa_uses_dynamic_stack 0
		.amdhsa_enable_private_segment 0
		.amdhsa_system_sgpr_workgroup_id_x 1
		.amdhsa_system_sgpr_workgroup_id_y 0
		.amdhsa_system_sgpr_workgroup_id_z 0
		.amdhsa_system_sgpr_workgroup_info 0
		.amdhsa_system_vgpr_workitem_id 0
		.amdhsa_next_free_vgpr 48
		.amdhsa_next_free_sgpr 16
		.amdhsa_reserve_vcc 1
		.amdhsa_float_round_mode_32 0
		.amdhsa_float_round_mode_16_64 0
		.amdhsa_float_denorm_mode_32 3
		.amdhsa_float_denorm_mode_16_64 3
		.amdhsa_dx10_clamp 1
		.amdhsa_ieee_mode 1
		.amdhsa_fp16_overflow 0
		.amdhsa_workgroup_processor_mode 1
		.amdhsa_memory_ordered 1
		.amdhsa_forward_progress 0
		.amdhsa_shared_vgpr_count 0
		.amdhsa_exception_fp_ieee_invalid_op 0
		.amdhsa_exception_fp_denorm_src 0
		.amdhsa_exception_fp_ieee_div_zero 0
		.amdhsa_exception_fp_ieee_overflow 0
		.amdhsa_exception_fp_ieee_underflow 0
		.amdhsa_exception_fp_ieee_inexact 0
		.amdhsa_exception_int_div_zero 0
	.end_amdhsa_kernel
	.section	.text._ZN5aiter14LLGemm1_kernelI6__halfLi8EEEvPKT_S4_PS2_i,"axG",@progbits,_ZN5aiter14LLGemm1_kernelI6__halfLi8EEEvPKT_S4_PS2_i,comdat
.Lfunc_end4:
	.size	_ZN5aiter14LLGemm1_kernelI6__halfLi8EEEvPKT_S4_PS2_i, .Lfunc_end4-_ZN5aiter14LLGemm1_kernelI6__halfLi8EEEvPKT_S4_PS2_i
                                        ; -- End function
	.section	.AMDGPU.csdata,"",@progbits
; Kernel info:
; codeLenInByte = 2676
; NumSgprs: 18
; NumVgprs: 48
; ScratchSize: 0
; MemoryBound: 0
; FloatMode: 240
; IeeeMode: 1
; LDSByteSize: 1024 bytes/workgroup (compile time only)
; SGPRBlocks: 2
; VGPRBlocks: 5
; NumSGPRsForWavesPerEU: 18
; NumVGPRsForWavesPerEU: 48
; Occupancy: 16
; WaveLimiterHint : 0
; COMPUTE_PGM_RSRC2:SCRATCH_EN: 0
; COMPUTE_PGM_RSRC2:USER_SGPR: 15
; COMPUTE_PGM_RSRC2:TRAP_HANDLER: 0
; COMPUTE_PGM_RSRC2:TGID_X_EN: 1
; COMPUTE_PGM_RSRC2:TGID_Y_EN: 0
; COMPUTE_PGM_RSRC2:TGID_Z_EN: 0
; COMPUTE_PGM_RSRC2:TIDIG_COMP_CNT: 0
	.section	.text._ZN5aiter14LLGemm1_kernelI6__halfLi16EEEvPKT_S4_PS2_i,"axG",@progbits,_ZN5aiter14LLGemm1_kernelI6__halfLi16EEEvPKT_S4_PS2_i,comdat
	.protected	_ZN5aiter14LLGemm1_kernelI6__halfLi16EEEvPKT_S4_PS2_i ; -- Begin function _ZN5aiter14LLGemm1_kernelI6__halfLi16EEEvPKT_S4_PS2_i
	.globl	_ZN5aiter14LLGemm1_kernelI6__halfLi16EEEvPKT_S4_PS2_i
	.p2align	8
	.type	_ZN5aiter14LLGemm1_kernelI6__halfLi16EEEvPKT_S4_PS2_i,@function
_ZN5aiter14LLGemm1_kernelI6__halfLi16EEEvPKT_S4_PS2_i: ; @_ZN5aiter14LLGemm1_kernelI6__halfLi16EEEvPKT_S4_PS2_i
; %bb.0:
	s_clause 0x2
	s_load_b32 s10, s[0:1], 0x18
	s_load_b128 s[4:7], s[0:1], 0x0
	s_load_b64 s[16:17], s[0:1], 0x10
	v_lshlrev_b32_e32 v1, 3, v0
                                        ; implicit-def: $vgpr5
                                        ; implicit-def: $vgpr9
                                        ; implicit-def: $vgpr13
                                        ; implicit-def: $vgpr17
                                        ; implicit-def: $vgpr21
                                        ; implicit-def: $vgpr25
                                        ; implicit-def: $vgpr29
                                        ; implicit-def: $vgpr33
                                        ; implicit-def: $vgpr37
                                        ; implicit-def: $vgpr41
                                        ; implicit-def: $vgpr45
                                        ; implicit-def: $vgpr49
                                        ; implicit-def: $vgpr53
                                        ; implicit-def: $vgpr61
                                        ; implicit-def: $vgpr65
	s_waitcnt lgkmcnt(0)
	s_delay_alu instid0(VALU_DEP_1)
	v_cmp_gt_i32_e32 vcc_lo, s10, v1
                                        ; implicit-def: $vgpr1
	s_and_saveexec_b32 s3, vcc_lo
	s_cbranch_execz .LBB5_2
; %bb.1:
	s_mul_i32 s2, s15, s10
	s_lshr_b32 s8, s10, 3
	s_lshl_b32 s2, s2, 1
	s_mov_b32 s9, 0
	s_and_b32 s2, s2, 0x1ffffffe
	s_delay_alu instid0(SALU_CYCLE_1) | instskip(SKIP_1) | instid1(VALU_DEP_1)
	v_dual_mov_b32 v2, 0 :: v_dual_add_nc_u32 v1, s2, v0
	s_lshl_b64 s[12:13], s[8:9], 4
	v_add3_u32 v3, s8, s8, v1
	s_delay_alu instid0(VALU_DEP_2) | instskip(NEXT) | instid1(VALU_DEP_2)
	v_lshlrev_b64 v[5:6], 4, v[1:2]
	v_dual_mov_b32 v4, v2 :: v_dual_add_nc_u32 v7, s8, v3
	v_mov_b32_e32 v8, v2
	s_delay_alu instid0(VALU_DEP_2) | instskip(NEXT) | instid1(VALU_DEP_4)
	v_lshlrev_b64 v[9:10], 4, v[3:4]
	v_add_co_u32 v3, s2, s4, v5
	s_delay_alu instid0(VALU_DEP_1) | instskip(NEXT) | instid1(VALU_DEP_4)
	v_add_co_ci_u32_e64 v4, s2, s5, v6, s2
	v_lshlrev_b64 v[5:6], 4, v[7:8]
	v_add_nc_u32_e32 v7, s8, v7
	s_delay_alu instid0(VALU_DEP_4) | instskip(NEXT) | instid1(VALU_DEP_1)
	v_add_co_u32 v11, s2, v3, s12
	v_add_co_ci_u32_e64 v12, s2, s13, v4, s2
	s_delay_alu instid0(VALU_DEP_3) | instskip(SKIP_2) | instid1(VALU_DEP_1)
	v_lshlrev_b64 v[13:14], 4, v[7:8]
	v_add_nc_u32_e32 v7, s8, v7
	v_add_co_u32 v9, s2, s4, v9
	v_add_co_ci_u32_e64 v10, s2, s5, v10, s2
	v_add_co_u32 v5, s2, s4, v5
	s_delay_alu instid0(VALU_DEP_4) | instskip(SKIP_3) | instid1(VALU_DEP_1)
	v_lshlrev_b64 v[15:16], 4, v[7:8]
	v_add_co_ci_u32_e64 v6, s2, s5, v6, s2
	v_add_nc_u32_e32 v7, s8, v7
	v_add_co_u32 v13, s2, s4, v13
	v_add_co_ci_u32_e64 v14, s2, s5, v14, s2
	v_add_co_u32 v15, s2, s4, v15
	s_delay_alu instid0(VALU_DEP_4) | instskip(SKIP_3) | instid1(SALU_CYCLE_1)
	v_lshlrev_b64 v[17:18], 4, v[7:8]
	v_add_nc_u32_e32 v7, s8, v7
	v_add_co_ci_u32_e64 v16, s2, s5, v16, s2
	s_and_b32 s2, s10, -8
	v_add_nc_u32_e32 v1, s2, v1
	s_delay_alu instid0(VALU_DEP_3) | instskip(SKIP_1) | instid1(VALU_DEP_1)
	v_lshlrev_b64 v[19:20], 4, v[7:8]
	v_add_co_u32 v17, s2, s4, v17
	v_add_co_ci_u32_e64 v18, s2, s5, v18, s2
	s_delay_alu instid0(VALU_DEP_4) | instskip(SKIP_2) | instid1(VALU_DEP_1)
	v_lshlrev_b64 v[21:22], 4, v[1:2]
	v_lshl_add_u32 v1, s8, 1, v7
	v_add_co_u32 v7, s2, s4, v19
	v_add_co_ci_u32_e64 v8, s2, s5, v20, s2
	s_delay_alu instid0(VALU_DEP_3) | instskip(SKIP_2) | instid1(VALU_DEP_1)
	v_lshlrev_b64 v[19:20], 4, v[1:2]
	v_add_nc_u32_e32 v1, s8, v1
	v_add_co_u32 v21, s2, s4, v21
	v_add_co_ci_u32_e64 v22, s2, s5, v22, s2
	s_delay_alu instid0(VALU_DEP_3) | instskip(SKIP_2) | instid1(VALU_DEP_1)
	v_lshlrev_b64 v[23:24], 4, v[1:2]
	v_add_nc_u32_e32 v1, s8, v1
	;; [unrolled: 5-line block ×6, first 2 shown]
	v_add_co_u32 v69, s2, s4, v25
	v_add_co_ci_u32_e64 v70, s2, s5, v26, s2
	s_delay_alu instid0(VALU_DEP_3) | instskip(SKIP_1) | instid1(VALU_DEP_1)
	v_lshlrev_b64 v[1:2], 4, v[1:2]
	v_add_co_u32 v71, s2, s4, v27
	v_add_co_ci_u32_e64 v72, s2, s5, v28, s2
	s_delay_alu instid0(VALU_DEP_3) | instskip(NEXT) | instid1(VALU_DEP_1)
	v_add_co_u32 v1, s2, s4, v1
	v_add_co_ci_u32_e64 v2, s2, s5, v2, s2
	s_clause 0xf
	global_load_b128 v[65:68], v[3:4], off slc dlc
	global_load_b128 v[61:64], v[11:12], off slc dlc
	global_load_b128 v[53:56], v[9:10], off slc dlc
	global_load_b128 v[49:52], v[5:6], off slc dlc
	global_load_b128 v[45:48], v[13:14], off slc dlc
	global_load_b128 v[41:44], v[15:16], off slc dlc
	global_load_b128 v[37:40], v[17:18], off slc dlc
	global_load_b128 v[33:36], v[7:8], off slc dlc
	global_load_b128 v[29:32], v[21:22], off slc dlc
	global_load_b128 v[25:28], v[19:20], off slc dlc
	global_load_b128 v[21:24], v[23:24], off slc dlc
	global_load_b128 v[17:20], v[57:58], off slc dlc
	global_load_b128 v[13:16], v[59:60], off slc dlc
	global_load_b128 v[9:12], v[69:70], off slc dlc
	global_load_b128 v[5:8], v[71:72], off slc dlc
	global_load_b128 v[1:4], v[1:2], off slc dlc
.LBB5_2:
	s_or_b32 exec_lo, exec_lo, s3
	s_waitcnt vmcnt(14)
	v_lshrrev_b32_e32 v70, 16, v61
	v_cvt_f32_f16_e32 v61, v61
	s_waitcnt vmcnt(13)
	v_lshrrev_b32_e32 v71, 16, v53
	v_lshrrev_b32_e32 v69, 16, v65
	v_cvt_f32_f16_e32 v65, v65
	v_cvt_f32_f16_e32 v70, v70
	v_lshlrev_b32_e32 v57, 4, v0
	v_cvt_f32_f16_e32 v53, v53
	v_cvt_f32_f16_e32 v71, v71
	s_waitcnt vmcnt(12)
	v_lshrrev_b32_e32 v72, 16, v49
	v_cvt_f32_f16_e32 v49, v49
	global_load_b128 v[57:60], v57, s[6:7]
	v_cvt_f32_f16_e32 v69, v69
	s_waitcnt vmcnt(12)
	v_lshrrev_b32_e32 v73, 16, v45
	v_cvt_f32_f16_e32 v45, v45
	s_waitcnt vmcnt(11)
	v_lshrrev_b32_e32 v75, 16, v41
	;; [unrolled: 3-line block ×5, first 2 shown]
	v_cvt_f32_f16_e32 v29, v29
	s_load_b32 s0, s[0:1], 0x2c
	s_mov_b32 s1, exec_lo
	s_waitcnt vmcnt(0)
	v_lshrrev_b32_e32 v74, 16, v57
	v_cvt_f32_f16_e32 v57, v57
	s_delay_alu instid0(VALU_DEP_2) | instskip(NEXT) | instid1(VALU_DEP_2)
	v_cvt_f32_f16_e32 v74, v74
	v_mul_f32_e32 v61, v57, v61
	v_mul_f32_e32 v65, v57, v65
	;; [unrolled: 1-line block ×3, first 2 shown]
	s_delay_alu instid0(VALU_DEP_4) | instskip(NEXT) | instid1(VALU_DEP_4)
	v_dual_mul_f32 v49, v57, v49 :: v_dual_mul_f32 v70, v74, v70
	v_fma_mix_f32 v61, v62, v58, v61 op_sel_hi:[1,1,0]
	v_mul_f32_e32 v37, v57, v37
	s_delay_alu instid0(VALU_DEP_4) | instskip(NEXT) | instid1(VALU_DEP_4)
	v_fma_mix_f32 v53, v54, v58, v53 op_sel_hi:[1,1,0]
	v_fma_mix_f32 v49, v50, v58, v49 op_sel_hi:[1,1,0]
	v_fma_mix_f32 v62, v62, v58, v70 op_sel:[1,1,0] op_sel_hi:[1,1,0]
	v_mul_f32_e32 v70, v74, v71
	v_cvt_f32_f16_e32 v71, v1
	v_fma_mix_f32 v53, v55, v59, v53 op_sel_hi:[1,1,0]
	v_fma_mix_f32 v49, v51, v59, v49 op_sel_hi:[1,1,0]
	;; [unrolled: 1-line block ×3, first 2 shown]
	v_fma_mix_f32 v54, v54, v58, v70 op_sel:[1,1,0] op_sel_hi:[1,1,0]
	v_cvt_f32_f16_e32 v70, v72
	v_fma_mix_f32 v53, v56, v60, v53 op_sel_hi:[1,1,0]
	v_fma_mix_f32 v49, v52, v60, v49 op_sel_hi:[1,1,0]
	v_fma_mix_f32 v61, v63, v59, v61 op_sel_hi:[1,1,0]
	v_fma_mix_f32 v54, v55, v59, v54 op_sel:[1,1,0] op_sel_hi:[1,1,0]
	v_mul_f32_e32 v70, v74, v70
	v_fma_mix_f32 v62, v63, v59, v62 op_sel:[1,1,0] op_sel_hi:[1,1,0]
	v_lshrrev_b32_e32 v63, 16, v13
	v_fma_mix_f32 v61, v64, v60, v61 op_sel_hi:[1,1,0]
	v_fma_mix_f32 v54, v56, v60, v54 op_sel:[1,1,0] op_sel_hi:[1,1,0]
	v_fma_mix_f32 v50, v50, v58, v70 op_sel:[1,1,0] op_sel_hi:[1,1,0]
	v_lshrrev_b32_e32 v56, 16, v1
	v_mbcnt_lo_u32_b32 v1, -1, 0
	v_fma_mix_f32 v62, v64, v60, v62 op_sel:[1,1,0] op_sel_hi:[1,1,0]
	v_lshrrev_b32_e32 v64, 16, v9
	v_fma_mix_f32 v50, v51, v59, v50 op_sel:[1,1,0] op_sel_hi:[1,1,0]
	v_lshrrev_b32_e32 v55, 16, v5
	v_cvt_f32_f16_e32 v13, v13
	v_cvt_f32_f16_e32 v9, v9
	;; [unrolled: 1-line block ×3, first 2 shown]
	v_fma_mix_f32 v50, v52, v60, v50 op_sel:[1,1,0] op_sel_hi:[1,1,0]
	v_xor_b32_e32 v52, 16, v1
	v_cvt_f32_f16_e32 v63, v63
	v_cvt_f32_f16_e32 v64, v64
	;; [unrolled: 1-line block ×3, first 2 shown]
	v_mul_f32_e32 v45, v57, v45
	v_cmp_gt_i32_e64 s2, 32, v52
	v_mul_f32_e32 v13, v57, v13
	v_mul_f32_e32 v9, v57, v9
	v_mul_f32_e32 v5, v57, v5
	v_mul_f32_e32 v63, v74, v63
	v_cndmask_b32_e64 v52, v1, v52, s2
	v_mul_f32_e32 v69, v74, v69
	v_mul_f32_e32 v64, v74, v64
	v_fma_mix_f32 v65, v67, v59, v65 op_sel_hi:[1,1,0]
	v_fma_mix_f32 v13, v14, v58, v13 op_sel_hi:[1,1,0]
	v_lshlrev_b32_e32 v52, 2, v52
	v_fma_mix_f32 v66, v66, v58, v69 op_sel:[1,1,0] op_sel_hi:[1,1,0]
	v_lshrrev_b32_e32 v69, 16, v25
	v_fma_mix_f32 v9, v10, v58, v9 op_sel_hi:[1,1,0]
	v_fma_mix_f32 v5, v6, v58, v5 op_sel_hi:[1,1,0]
	v_fma_mix_f32 v14, v14, v58, v63 op_sel:[1,1,0] op_sel_hi:[1,1,0]
	v_fma_mix_f32 v66, v67, v59, v66 op_sel:[1,1,0] op_sel_hi:[1,1,0]
	v_cvt_f32_f16_e32 v51, v69
	v_xor_b32_e32 v69, 8, v1
	v_lshrrev_b32_e32 v67, 16, v21
	v_fma_mix_f32 v10, v10, v58, v64 op_sel:[1,1,0] op_sel_hi:[1,1,0]
	v_cvt_f32_f16_e32 v25, v25
	v_fma_mix_f32 v65, v68, v60, v65 op_sel_hi:[1,1,0]
	v_cmp_gt_i32_e64 s2, 32, v69
	v_fma_mix_f32 v66, v68, v60, v66 op_sel:[1,1,0] op_sel_hi:[1,1,0]
	v_cvt_f32_f16_e32 v21, v21
	v_lshrrev_b32_e32 v68, 16, v17
	v_cvt_f32_f16_e32 v17, v17
	v_cndmask_b32_e64 v69, v1, v69, s2
	v_mul_f32_e32 v55, v74, v55
	v_cvt_f32_f16_e32 v72, v73
	v_cvt_f32_f16_e32 v73, v75
	;; [unrolled: 1-line block ×4, first 2 shown]
	v_fma_mix_f32 v6, v6, v58, v55 op_sel:[1,1,0] op_sel_hi:[1,1,0]
	v_fma_mix_f32 v13, v15, v59, v13 op_sel_hi:[1,1,0]
	v_fma_mix_f32 v9, v11, v59, v9 op_sel_hi:[1,1,0]
	;; [unrolled: 1-line block ×3, first 2 shown]
	v_fma_mix_f32 v14, v15, v59, v14 op_sel:[1,1,0] op_sel_hi:[1,1,0]
	v_fma_mix_f32 v10, v11, v59, v10 op_sel:[1,1,0] op_sel_hi:[1,1,0]
	;; [unrolled: 1-line block ×3, first 2 shown]
	v_dual_mul_f32 v41, v57, v41 :: v_dual_mul_f32 v56, v74, v56
	v_mul_f32_e32 v21, v57, v21
	v_mul_f32_e32 v17, v57, v17
	;; [unrolled: 1-line block ×4, first 2 shown]
	v_fma_mix_f32 v13, v16, v60, v13 op_sel_hi:[1,1,0]
	v_fma_mix_f32 v9, v12, v60, v9 op_sel_hi:[1,1,0]
	;; [unrolled: 1-line block ×3, first 2 shown]
	v_fma_mix_f32 v14, v16, v60, v14 op_sel:[1,1,0] op_sel_hi:[1,1,0]
	v_fma_mix_f32 v10, v12, v60, v10 op_sel:[1,1,0] op_sel_hi:[1,1,0]
	v_add_f32_e32 v12, v53, v54
	v_mul_f32_e32 v29, v57, v29
	v_fma_mix_f32 v6, v8, v60, v6 op_sel:[1,1,0] op_sel_hi:[1,1,0]
	v_add_f32_e32 v8, v61, v62
	v_mul_f32_e32 v33, v57, v33
	v_add_f32_e32 v16, v49, v50
	v_mul_f32_e32 v25, v57, v25
	v_mul_f32_e32 v57, v57, v71
	;; [unrolled: 1-line block ×4, first 2 shown]
	v_fma_mix_f32 v41, v42, v58, v41 op_sel_hi:[1,1,0]
	v_fma_mix_f32 v25, v26, v58, v25 op_sel_hi:[1,1,0]
	;; [unrolled: 1-line block ×3, first 2 shown]
	v_fma_mix_f32 v2, v2, v58, v56 op_sel:[1,1,0] op_sel_hi:[1,1,0]
	v_fma_mix_f32 v42, v42, v58, v72 op_sel:[1,1,0] op_sel_hi:[1,1,0]
	v_fma_mix_f32 v41, v43, v59, v41 op_sel_hi:[1,1,0]
	v_fma_mix_f32 v26, v26, v58, v51 op_sel:[1,1,0] op_sel_hi:[1,1,0]
	v_fma_mix_f32 v51, v3, v59, v57 op_sel_hi:[1,1,0]
	v_fma_mix_f32 v2, v3, v59, v2 op_sel:[1,1,0] op_sel_hi:[1,1,0]
	v_fma_mix_f32 v42, v43, v59, v42 op_sel:[1,1,0] op_sel_hi:[1,1,0]
	v_fma_mix_f32 v41, v44, v60, v41 op_sel_hi:[1,1,0]
	v_add_f32_e32 v9, v9, v10
	v_fma_mix_f32 v3, v4, v60, v51 op_sel_hi:[1,1,0]
	v_fma_mix_f32 v2, v4, v60, v2 op_sel:[1,1,0] op_sel_hi:[1,1,0]
	v_fma_mix_f32 v11, v44, v60, v42 op_sel:[1,1,0] op_sel_hi:[1,1,0]
	v_add_f32_e32 v4, v65, v66
	v_cvt_f32_f16_e32 v75, v77
	v_cvt_f32_f16_e32 v68, v68
	v_add_f32_e32 v2, v3, v2
	v_fma_mix_f32 v17, v18, v58, v17 op_sel_hi:[1,1,0]
	v_cndmask_b32_e32 v3, 0, v4, vcc_lo
	v_cndmask_b32_e32 v4, 0, v8, vcc_lo
	v_dual_cndmask_b32 v8, 0, v16 :: v_dual_add_f32 v11, v41, v11
	v_fma_mix_f32 v33, v34, v58, v33 op_sel_hi:[1,1,0]
	v_mul_f32_e32 v68, v74, v68
	v_fma_mix_f32 v17, v19, v59, v17 op_sel_hi:[1,1,0]
	v_cvt_f32_f16_e32 v70, v76
	v_cndmask_b32_e32 v10, 0, v11, vcc_lo
	v_fma_mix_f32 v21, v22, v58, v21 op_sel_hi:[1,1,0]
	v_fma_mix_f32 v22, v22, v58, v67 op_sel:[1,1,0] op_sel_hi:[1,1,0]
	v_fma_mix_f32 v33, v35, v59, v33 op_sel_hi:[1,1,0]
	v_fma_mix_f32 v18, v18, v58, v68 op_sel:[1,1,0] op_sel_hi:[1,1,0]
	v_cvt_f32_f16_e32 v76, v78
	v_fma_mix_f32 v21, v23, v59, v21 op_sel_hi:[1,1,0]
	v_fma_mix_f32 v22, v23, v59, v22 op_sel:[1,1,0] op_sel_hi:[1,1,0]
	v_fma_mix_f32 v33, v36, v60, v33 op_sel_hi:[1,1,0]
	v_fma_mix_f32 v18, v19, v59, v18 op_sel:[1,1,0] op_sel_hi:[1,1,0]
	v_fma_mix_f32 v25, v27, v59, v25 op_sel_hi:[1,1,0]
	v_fma_mix_f32 v21, v24, v60, v21 op_sel_hi:[1,1,0]
	v_fma_mix_f32 v22, v24, v60, v22 op_sel:[1,1,0] op_sel_hi:[1,1,0]
	v_fma_mix_f32 v26, v27, v59, v26 op_sel:[1,1,0] op_sel_hi:[1,1,0]
	v_fma_mix_f32 v17, v20, v60, v17 op_sel_hi:[1,1,0]
	v_fma_mix_f32 v18, v20, v60, v18 op_sel:[1,1,0] op_sel_hi:[1,1,0]
	v_fma_mix_f32 v25, v28, v60, v25 op_sel_hi:[1,1,0]
	v_add_f32_e32 v21, v21, v22
	v_mul_f32_e32 v73, v74, v75
	v_fma_mix_f32 v26, v28, v60, v26 op_sel:[1,1,0] op_sel_hi:[1,1,0]
	v_add_f32_e32 v13, v13, v14
	v_mul_f32_e32 v70, v74, v70
	v_cndmask_b32_e32 v16, 0, v21, vcc_lo
	ds_bpermute_b32 v21, v52, v8
	v_fma_mix_f32 v34, v34, v58, v73 op_sel:[1,1,0] op_sel_hi:[1,1,0]
	v_fma_mix_f32 v37, v38, v58, v37 op_sel_hi:[1,1,0]
	v_fma_mix_f32 v38, v38, v58, v70 op_sel:[1,1,0] op_sel_hi:[1,1,0]
	ds_bpermute_b32 v28, v52, v16
	v_fma_mix_f32 v45, v46, v58, v45 op_sel_hi:[1,1,0]
	v_fma_mix_f32 v34, v35, v59, v34 op_sel:[1,1,0] op_sel_hi:[1,1,0]
	v_fma_mix_f32 v37, v39, v59, v37 op_sel_hi:[1,1,0]
	v_fma_mix_f32 v38, v39, v59, v38 op_sel:[1,1,0] op_sel_hi:[1,1,0]
	v_fma_mix_f32 v46, v46, v58, v71 op_sel:[1,1,0] op_sel_hi:[1,1,0]
	v_fma_mix_f32 v45, v47, v59, v45 op_sel_hi:[1,1,0]
	v_fma_mix_f32 v19, v36, v60, v34 op_sel:[1,1,0] op_sel_hi:[1,1,0]
	v_lshlrev_b32_e32 v36, 2, v69
	v_fma_mix_f32 v37, v40, v60, v37 op_sel_hi:[1,1,0]
	v_fma_mix_f32 v15, v40, v60, v38 op_sel:[1,1,0] op_sel_hi:[1,1,0]
	v_fma_mix_f32 v46, v47, v59, v46 op_sel:[1,1,0] op_sel_hi:[1,1,0]
	v_fma_mix_f32 v45, v48, v60, v45 op_sel_hi:[1,1,0]
	v_cndmask_b32_e32 v2, 0, v2, vcc_lo
	v_xor_b32_e32 v77, 4, v1
	v_xor_b32_e32 v34, 2, v1
	s_waitcnt lgkmcnt(0)
	v_add_f32_e32 v8, v8, v21
	v_fma_mix_f32 v7, v48, v60, v46 op_sel:[1,1,0] op_sel_hi:[1,1,0]
	v_add_f32_e32 v16, v16, v28
	ds_bpermute_b32 v21, v36, v8
	v_dual_add_f32 v5, v5, v6 :: v_dual_cndmask_b32 v6, 0, v12
	v_fma_mix_f32 v29, v30, v58, v29 op_sel_hi:[1,1,0]
	ds_bpermute_b32 v28, v36, v16
	v_fma_mix_f32 v29, v31, v59, v29 op_sel_hi:[1,1,0]
	s_delay_alu instid0(VALU_DEP_1) | instskip(SKIP_1) | instid1(VALU_DEP_1)
	v_fma_mix_f32 v29, v32, v60, v29 op_sel_hi:[1,1,0]
	v_mul_f32_e32 v75, v74, v76
	v_fma_mix_f32 v30, v30, v58, v75 op_sel:[1,1,0] op_sel_hi:[1,1,0]
	s_waitcnt lgkmcnt(1)
	v_add_f32_e32 v8, v8, v21
	s_delay_alu instid0(VALU_DEP_2) | instskip(SKIP_2) | instid1(VALU_DEP_2)
	v_fma_mix_f32 v30, v31, v59, v30 op_sel:[1,1,0] op_sel_hi:[1,1,0]
	s_waitcnt lgkmcnt(0)
	v_add_f32_e32 v16, v16, v28
	v_fma_mix_f32 v23, v32, v60, v30 op_sel:[1,1,0] op_sel_hi:[1,1,0]
	s_delay_alu instid0(VALU_DEP_1) | instskip(NEXT) | instid1(VALU_DEP_1)
	v_add_f32_e32 v20, v29, v23
	v_dual_add_f32 v23, v25, v26 :: v_dual_cndmask_b32 v14, 0, v20
	ds_bpermute_b32 v20, v52, v6
	v_add_f32_e32 v7, v45, v7
	ds_bpermute_b32 v26, v52, v14
	v_add_f32_e32 v19, v33, v19
	ds_bpermute_b32 v33, v52, v2
	s_waitcnt lgkmcnt(2)
	v_dual_add_f32 v17, v17, v18 :: v_dual_add_f32 v6, v6, v20
	s_waitcnt lgkmcnt(1)
	v_add_f32_e32 v14, v14, v26
	v_cndmask_b32_e32 v12, 0, v19, vcc_lo
	s_waitcnt lgkmcnt(0)
	v_add_f32_e32 v2, v2, v33
	ds_bpermute_b32 v19, v52, v4
	ds_bpermute_b32 v20, v36, v6
	;; [unrolled: 1-line block ×4, first 2 shown]
	v_add_f32_e32 v15, v37, v15
	ds_bpermute_b32 v33, v36, v2
	s_waitcnt lgkmcnt(4)
	v_add_f32_e32 v4, v4, v19
	s_waitcnt lgkmcnt(3)
	v_dual_add_f32 v6, v6, v20 :: v_dual_cndmask_b32 v5, 0, v5
	s_waitcnt lgkmcnt(1)
	v_dual_add_f32 v12, v12, v25 :: v_dual_cndmask_b32 v11, 0, v15
	v_dual_add_f32 v14, v14, v26 :: v_dual_cndmask_b32 v15, 0, v23
	ds_bpermute_b32 v23, v52, v10
	ds_bpermute_b32 v19, v36, v4
	;; [unrolled: 1-line block ×3, first 2 shown]
	v_cndmask_b32_e32 v7, 0, v7, vcc_lo
	ds_bpermute_b32 v27, v52, v15
	ds_bpermute_b32 v24, v52, v11
	s_waitcnt lgkmcnt(5)
	v_add_f32_e32 v2, v2, v33
	s_waitcnt lgkmcnt(4)
	v_add_f32_e32 v10, v10, v23
	s_waitcnt lgkmcnt(3)
	v_add_f32_e32 v4, v4, v19
	s_waitcnt lgkmcnt(2)
	v_add_f32_e32 v12, v12, v25
	v_cndmask_b32_e32 v13, 0, v13, vcc_lo
	v_cndmask_b32_e32 v9, 0, v9, vcc_lo
	ds_bpermute_b32 v23, v36, v10
	v_cndmask_b32_e32 v17, 0, v17, vcc_lo
	v_cmp_gt_i32_e32 vcc_lo, 32, v77
	ds_bpermute_b32 v22, v52, v7
	s_waitcnt lgkmcnt(1)
	v_dual_add_f32 v10, v10, v23 :: v_dual_cndmask_b32 v35, v1, v77
	v_cmp_gt_i32_e32 vcc_lo, 32, v34
	ds_bpermute_b32 v29, v52, v17
	v_dual_cndmask_b32 v34, v1, v34 :: v_dual_lshlrev_b32 v35, 2, v35
	ds_bpermute_b32 v18, v52, v3
	ds_bpermute_b32 v21, v35, v8
	s_waitcnt lgkmcnt(3)
	v_add_f32_e32 v7, v7, v22
	v_lshlrev_b32_e32 v34, 2, v34
	ds_bpermute_b32 v30, v52, v13
	s_waitcnt lgkmcnt(1)
	v_dual_add_f32 v3, v3, v18 :: v_dual_add_f32 v8, v8, v21
	ds_bpermute_b32 v22, v36, v7
	ds_bpermute_b32 v18, v36, v3
	;; [unrolled: 1-line block ×3, first 2 shown]
	s_waitcnt lgkmcnt(0)
	v_add_f32_e32 v8, v8, v21
	ds_bpermute_b32 v20, v35, v6
	ds_bpermute_b32 v26, v35, v14
	;; [unrolled: 1-line block ×3, first 2 shown]
	v_add_f32_e32 v15, v15, v27
	ds_bpermute_b32 v25, v35, v12
	ds_bpermute_b32 v23, v35, v10
	v_add_f32_e32 v11, v11, v24
	ds_bpermute_b32 v33, v35, v2
	v_add_f32_e32 v13, v13, v30
	ds_bpermute_b32 v28, v35, v16
	s_waitcnt lgkmcnt(6)
	v_dual_add_f32 v17, v17, v29 :: v_dual_add_f32 v6, v6, v20
	s_waitcnt lgkmcnt(5)
	v_add_f32_e32 v14, v14, v26
	ds_bpermute_b32 v27, v36, v15
	s_waitcnt lgkmcnt(5)
	v_add_f32_e32 v4, v4, v19
	ds_bpermute_b32 v31, v52, v9
	ds_bpermute_b32 v20, v34, v6
	;; [unrolled: 1-line block ×3, first 2 shown]
	s_waitcnt lgkmcnt(7)
	v_add_f32_e32 v12, v12, v25
	ds_bpermute_b32 v24, v36, v11
	s_waitcnt lgkmcnt(5)
	v_add_f32_e32 v16, v16, v28
	v_add_f32_e32 v10, v10, v23
	ds_bpermute_b32 v32, v52, v5
	ds_bpermute_b32 v25, v34, v12
	v_add_f32_e32 v2, v2, v33
	ds_bpermute_b32 v30, v36, v13
	ds_bpermute_b32 v23, v34, v10
	v_add_f32_e32 v7, v7, v22
	ds_bpermute_b32 v29, v36, v17
	ds_bpermute_b32 v33, v34, v2
	ds_bpermute_b32 v19, v34, v4
	ds_bpermute_b32 v28, v34, v16
	v_add_f32_e32 v3, v3, v18
	s_waitcnt lgkmcnt(12)
	v_add_f32_e32 v15, v15, v27
	s_waitcnt lgkmcnt(10)
	v_dual_add_f32 v9, v9, v31 :: v_dual_add_f32 v6, v6, v20
	s_waitcnt lgkmcnt(9)
	v_add_f32_e32 v20, v14, v26
	ds_bpermute_b32 v27, v35, v15
	s_waitcnt lgkmcnt(9)
	v_add_f32_e32 v11, v11, v24
	ds_bpermute_b32 v31, v36, v9
	s_waitcnt lgkmcnt(8)
	v_dual_add_f32 v5, v5, v32 :: v_dual_add_f32 v12, v12, v25
	ds_bpermute_b32 v24, v35, v11
	s_waitcnt lgkmcnt(7)
	v_dual_add_f32 v13, v13, v30 :: v_dual_add_f32 v10, v10, v23
	ds_bpermute_b32 v22, v35, v7
	ds_bpermute_b32 v32, v36, v5
	s_waitcnt lgkmcnt(7)
	v_add_f32_e32 v26, v2, v33
	v_dual_add_f32 v17, v17, v29 :: v_dual_and_b32 v2, 31, v0
	ds_bpermute_b32 v30, v35, v13
	s_waitcnt lgkmcnt(7)
	v_add_f32_e32 v4, v4, v19
	ds_bpermute_b32 v18, v35, v3
	v_xor_b32_e32 v36, 1, v1
	s_waitcnt lgkmcnt(6)
	v_add_f32_e32 v15, v15, v27
	s_waitcnt lgkmcnt(5)
	v_add_f32_e32 v9, v9, v31
	v_cmp_gt_i32_e32 vcc_lo, 32, v36
	ds_bpermute_b32 v27, v34, v15
	ds_bpermute_b32 v31, v35, v9
	s_waitcnt lgkmcnt(4)
	v_add_f32_e32 v5, v5, v32
	s_waitcnt lgkmcnt(3)
	v_add_f32_e32 v13, v13, v30
	ds_bpermute_b32 v32, v35, v5
	s_waitcnt lgkmcnt(3)
	v_add_f32_e32 v3, v3, v18
	ds_bpermute_b32 v30, v34, v13
	v_add_f32_e32 v11, v11, v24
	ds_bpermute_b32 v18, v34, v3
	s_waitcnt lgkmcnt(4)
	v_add_f32_e32 v21, v15, v27
	v_add_f32_e32 v7, v7, v22
	s_waitcnt lgkmcnt(3)
	v_add_f32_e32 v9, v9, v31
	ds_bpermute_b32 v24, v34, v11
	ds_bpermute_b32 v22, v34, v7
	ds_bpermute_b32 v31, v34, v9
	s_waitcnt lgkmcnt(5)
	v_add_f32_e32 v5, v5, v32
	ds_bpermute_b32 v32, v34, v5
	s_waitcnt lgkmcnt(3)
	v_dual_add_f32 v11, v11, v24 :: v_dual_add_f32 v24, v13, v30
	s_waitcnt lgkmcnt(2)
	v_dual_add_f32 v7, v7, v22 :: v_dual_add_f32 v22, v16, v28
	ds_bpermute_b32 v29, v35, v17
	v_cndmask_b32_e32 v35, v1, v36, vcc_lo
	s_waitcnt lgkmcnt(2)
	v_add_f32_e32 v25, v9, v31
	s_waitcnt lgkmcnt(1)
	v_add_f32_e32 v5, v5, v32
	;; [unrolled: 2-line block ×3, first 2 shown]
	ds_bpermute_b32 v29, v34, v17
	v_lshlrev_b32_e32 v34, 2, v35
	ds_bpermute_b32 v14, v34, v6
	ds_bpermute_b32 v37, v34, v25
	v_add_f32_e32 v3, v3, v18
	ds_bpermute_b32 v13, v34, v4
	ds_bpermute_b32 v15, v34, v8
	;; [unrolled: 1-line block ×10, first 2 shown]
	s_waitcnt lgkmcnt(12)
	v_add_f32_e32 v23, v17, v29
	ds_bpermute_b32 v29, v34, v11
	ds_bpermute_b32 v35, v34, v23
	s_waitcnt lgkmcnt(13)
	v_add_f32_e32 v18, v6, v14
	s_waitcnt lgkmcnt(12)
	v_add_f32_e32 v6, v25, v37
	ds_bpermute_b32 v9, v34, v3
	ds_bpermute_b32 v34, v34, v26
	s_waitcnt lgkmcnt(13)
	v_add_f32_e32 v19, v4, v13
	s_waitcnt lgkmcnt(12)
	v_add_f32_e32 v16, v8, v15
	s_waitcnt lgkmcnt(10)
	v_dual_add_f32 v15, v7, v27 :: v_dual_add_f32 v14, v10, v28
	s_waitcnt lgkmcnt(9)
	v_add_f32_e32 v12, v12, v30
	s_waitcnt lgkmcnt(7)
	v_add_f32_e32 v10, v21, v32
	;; [unrolled: 2-line block ×5, first 2 shown]
	v_add_f32_e32 v11, v20, v31
	s_waitcnt lgkmcnt(2)
	v_add_f32_e32 v8, v23, v35
	s_waitcnt lgkmcnt(1)
	v_add_f32_e32 v17, v3, v9
	v_add_f32_e32 v9, v22, v33
	s_waitcnt lgkmcnt(0)
	v_add_f32_e32 v4, v26, v34
	v_cmpx_gt_u32_e32 16, v2
	s_cbranch_execz .LBB5_4
; %bb.3:
	v_cmp_eq_u32_e32 vcc_lo, 1, v2
	v_lshrrev_b32_e32 v20, 3, v0
	s_delay_alu instid0(VALU_DEP_1) | instskip(SKIP_1) | instid1(VALU_DEP_2)
	v_dual_cndmask_b32 v3, v17, v19 :: v_dual_and_b32 v20, 0x7c, v20
	v_cmp_eq_u32_e32 vcc_lo, 2, v2
	v_lshl_or_b32 v20, v2, 7, v20
	s_delay_alu instid0(VALU_DEP_3) | instskip(SKIP_1) | instid1(VALU_DEP_2)
	v_cndmask_b32_e32 v3, v3, v18, vcc_lo
	v_cmp_eq_u32_e32 vcc_lo, 3, v2
	v_cndmask_b32_e32 v3, v3, v16, vcc_lo
	v_cmp_eq_u32_e32 vcc_lo, 4, v2
	s_delay_alu instid0(VALU_DEP_2) | instskip(SKIP_1) | instid1(VALU_DEP_2)
	v_cndmask_b32_e32 v3, v3, v15, vcc_lo
	v_cmp_eq_u32_e32 vcc_lo, 5, v2
	v_cndmask_b32_e32 v3, v3, v14, vcc_lo
	v_cmp_eq_u32_e32 vcc_lo, 6, v2
	s_delay_alu instid0(VALU_DEP_2) | instskip(SKIP_1) | instid1(VALU_DEP_2)
	v_cndmask_b32_e32 v3, v3, v13, vcc_lo
	v_cmp_eq_u32_e32 vcc_lo, 7, v2
	v_cndmask_b32_e32 v3, v3, v12, vcc_lo
	v_cmp_eq_u32_e32 vcc_lo, 8, v2
	s_delay_alu instid0(VALU_DEP_2) | instskip(SKIP_1) | instid1(VALU_DEP_2)
	v_cndmask_b32_e32 v3, v3, v11, vcc_lo
	v_cmp_eq_u32_e32 vcc_lo, 9, v2
	v_cndmask_b32_e32 v3, v3, v10, vcc_lo
	v_cmp_eq_u32_e32 vcc_lo, 10, v2
	s_delay_alu instid0(VALU_DEP_2) | instskip(SKIP_1) | instid1(VALU_DEP_2)
	v_cndmask_b32_e32 v3, v3, v9, vcc_lo
	v_cmp_eq_u32_e32 vcc_lo, 11, v2
	v_cndmask_b32_e32 v3, v3, v8, vcc_lo
	v_cmp_eq_u32_e32 vcc_lo, 12, v2
	s_delay_alu instid0(VALU_DEP_2) | instskip(SKIP_1) | instid1(VALU_DEP_2)
	v_cndmask_b32_e32 v3, v3, v7, vcc_lo
	v_cmp_eq_u32_e32 vcc_lo, 13, v2
	v_cndmask_b32_e32 v3, v3, v6, vcc_lo
	v_cmp_eq_u32_e32 vcc_lo, 14, v2
	s_delay_alu instid0(VALU_DEP_2) | instskip(SKIP_1) | instid1(VALU_DEP_2)
	v_cndmask_b32_e32 v3, v3, v5, vcc_lo
	v_cmp_eq_u32_e32 vcc_lo, 15, v2
	v_cndmask_b32_e32 v3, v3, v4, vcc_lo
	ds_store_b32 v20, v3
.LBB5_4:
	s_or_b32 exec_lo, exec_lo, s1
	s_and_b32 s0, 0xffff, s0
	v_cvt_f32_u32_e32 v21, v0
	s_lshr_b32 s14, s0, 5
	s_waitcnt lgkmcnt(0)
	v_cvt_f32_u32_e32 v3, s14
	s_barrier
	buffer_gl0_inv
	s_mov_b32 s1, exec_lo
	v_rcp_iflag_f32_e32 v20, v3
	s_waitcnt_depctr 0xfff
	v_mul_f32_e32 v20, v21, v20
	s_delay_alu instid0(VALU_DEP_1) | instskip(NEXT) | instid1(VALU_DEP_1)
	v_trunc_f32_e32 v20, v20
	v_fma_f32 v21, -v20, v3, v21
	v_cvt_u32_f32_e32 v20, v20
	s_delay_alu instid0(VALU_DEP_2) | instskip(NEXT) | instid1(VALU_DEP_2)
	v_cmp_ge_f32_e64 vcc_lo, |v21|, v3
	v_add_co_ci_u32_e32 v3, vcc_lo, 0, v20, vcc_lo
	s_delay_alu instid0(VALU_DEP_1)
	v_cmpx_gt_u16_e32 16, v3
	s_cbranch_execz .LBB5_10
; %bb.5:
	v_mul_lo_u16 v20, v3, s14
	v_cmp_eq_u16_e32 vcc_lo, 15, v3
	s_cmp_lt_u32 s0, 64
	s_delay_alu instid0(VALU_DEP_2) | instskip(NEXT) | instid1(VALU_DEP_1)
	v_sub_nc_u16 v0, v0, v20
	v_and_b32_e32 v20, 0xffff, v0
	v_and_b32_e32 v0, 0xffff, v3
	s_delay_alu instid0(VALU_DEP_2) | instskip(NEXT) | instid1(VALU_DEP_1)
	v_lshlrev_b32_e32 v20, 2, v20
	v_lshl_add_u32 v20, v0, 7, v20
	ds_load_b32 v20, v20
	s_waitcnt lgkmcnt(0)
	v_cndmask_b32_e32 v4, v4, v20, vcc_lo
	v_cmp_eq_u16_e32 vcc_lo, 14, v3
	v_cndmask_b32_e32 v5, v5, v20, vcc_lo
	v_cmp_eq_u16_e32 vcc_lo, 13, v3
	v_cndmask_b32_e32 v6, v6, v20, vcc_lo
	v_cmp_eq_u16_e32 vcc_lo, 12, v3
	v_cndmask_b32_e32 v7, v7, v20, vcc_lo
	v_cmp_eq_u16_e32 vcc_lo, 11, v3
	v_cndmask_b32_e32 v8, v8, v20, vcc_lo
	v_cmp_eq_u16_e32 vcc_lo, 10, v3
	v_cndmask_b32_e32 v9, v9, v20, vcc_lo
	v_cmp_eq_u16_e32 vcc_lo, 9, v3
	v_cndmask_b32_e32 v10, v10, v20, vcc_lo
	v_cmp_eq_u16_e32 vcc_lo, 8, v3
	v_cndmask_b32_e32 v11, v11, v20, vcc_lo
	v_cmp_eq_u16_e32 vcc_lo, 7, v3
	v_cndmask_b32_e32 v12, v12, v20, vcc_lo
	v_cmp_eq_u16_e32 vcc_lo, 6, v3
	v_cndmask_b32_e32 v13, v13, v20, vcc_lo
	v_cmp_eq_u16_e32 vcc_lo, 5, v3
	v_cndmask_b32_e32 v14, v14, v20, vcc_lo
	v_cmp_eq_u16_e32 vcc_lo, 4, v3
	v_cndmask_b32_e32 v15, v15, v20, vcc_lo
	v_cmp_eq_u16_e32 vcc_lo, 3, v3
	v_cndmask_b32_e32 v16, v16, v20, vcc_lo
	v_cmp_eq_u16_e32 vcc_lo, 2, v3
	v_cndmask_b32_e32 v18, v18, v20, vcc_lo
	v_cmp_eq_u16_e32 vcc_lo, 1, v3
	v_cndmask_b32_e32 v19, v19, v20, vcc_lo
	v_cmp_eq_u16_e32 vcc_lo, 0, v3
	v_cndmask_b32_e32 v17, v17, v20, vcc_lo
	s_cbranch_scc1 .LBB5_8
; %bb.6:
	s_lshr_b32 s18, s0, 6
.LBB5_7:                                ; =>This Inner Loop Header: Depth=1
	s_delay_alu instid0(SALU_CYCLE_1)
	v_xor_b32_e32 v21, s18, v1
	v_cmp_eq_u32_e32 vcc_lo, 1, v0
	v_cmp_eq_u32_e64 s0, 2, v0
	v_cmp_eq_u32_e64 s1, 3, v0
	;; [unrolled: 1-line block ×3, first 2 shown]
	v_cmp_gt_i32_e64 s12, 32, v21
	v_cmp_eq_u32_e64 s3, 5, v0
	v_cmp_eq_u32_e64 s4, 6, v0
	;; [unrolled: 1-line block ×4, first 2 shown]
	v_cndmask_b32_e64 v21, v1, v21, s12
	v_cndmask_b32_e32 v20, v17, v19, vcc_lo
	v_cmp_eq_u32_e64 s7, 9, v0
	v_cmp_eq_u32_e64 s8, 10, v0
	;; [unrolled: 1-line block ×3, first 2 shown]
	v_lshlrev_b32_e32 v21, 2, v21
	v_cndmask_b32_e64 v20, v20, v18, s0
	v_cmp_eq_u32_e64 s10, 12, v0
	v_cmp_eq_u32_e64 s11, 13, v0
	v_cmp_eq_u32_e64 s12, 14, v0
	v_cmp_eq_u32_e64 s13, 15, v0
	v_cndmask_b32_e64 v20, v20, v16, s1
	s_delay_alu instid0(VALU_DEP_1) | instskip(NEXT) | instid1(VALU_DEP_1)
	v_cndmask_b32_e64 v20, v20, v15, s2
	v_cndmask_b32_e64 v20, v20, v14, s3
	s_delay_alu instid0(VALU_DEP_1) | instskip(NEXT) | instid1(VALU_DEP_1)
	v_cndmask_b32_e64 v20, v20, v13, s4
	;; [unrolled: 3-line block ×6, first 2 shown]
	v_cndmask_b32_e64 v20, v20, v4, s13
	ds_bpermute_b32 v21, v21, v20
	s_waitcnt lgkmcnt(0)
	v_add_f32_e32 v20, v20, v21
	s_delay_alu instid0(VALU_DEP_1)
	v_cndmask_b32_e32 v19, v19, v20, vcc_lo
	v_cmp_eq_u32_e32 vcc_lo, 0, v0
	v_cndmask_b32_e64 v4, v4, v20, s13
	v_cndmask_b32_e64 v5, v5, v20, s12
	;; [unrolled: 1-line block ×14, first 2 shown]
	v_cndmask_b32_e32 v17, v17, v20, vcc_lo
	s_lshr_b32 s0, s18, 1
	s_cmp_lt_u32 s18, 2
	s_mov_b32 s18, s0
	s_cbranch_scc0 .LBB5_7
.LBB5_8:
	v_cmp_eq_u32_e32 vcc_lo, 1, v0
	s_lshl_b32 s0, s14, 1
	s_delay_alu instid0(VALU_DEP_2) | instskip(SKIP_1) | instid1(VALU_DEP_2)
	v_cndmask_b32_e32 v17, v17, v19, vcc_lo
	v_cmp_eq_u32_e32 vcc_lo, 2, v0
	v_cndmask_b32_e32 v17, v17, v18, vcc_lo
	v_cmp_eq_u32_e32 vcc_lo, 3, v0
	s_delay_alu instid0(VALU_DEP_2) | instskip(SKIP_1) | instid1(VALU_DEP_2)
	v_cndmask_b32_e32 v16, v17, v16, vcc_lo
	v_cmp_eq_u32_e32 vcc_lo, 4, v0
	v_cndmask_b32_e32 v15, v16, v15, vcc_lo
	v_cmp_eq_u32_e32 vcc_lo, 5, v0
	;; [unrolled: 5-line block ×3, first 2 shown]
	s_delay_alu instid0(VALU_DEP_2) | instskip(SKIP_2) | instid1(VALU_DEP_3)
	v_cndmask_b32_e32 v12, v13, v12, vcc_lo
	v_cmp_eq_u32_e32 vcc_lo, 8, v0
	v_cvt_f32_u32_e32 v13, s0
	v_cndmask_b32_e32 v11, v12, v11, vcc_lo
	v_cmp_eq_u32_e32 vcc_lo, 9, v0
	s_delay_alu instid0(VALU_DEP_3) | instskip(NEXT) | instid1(VALU_DEP_2)
	v_rcp_iflag_f32_e32 v12, v13
	v_cndmask_b32_e32 v10, v11, v10, vcc_lo
	v_cmp_eq_u32_e32 vcc_lo, 10, v0
	v_cvt_f32_ubyte0_e32 v11, v2
	s_delay_alu instid0(VALU_DEP_3)
	v_cndmask_b32_e32 v9, v10, v9, vcc_lo
	v_cmp_eq_u32_e32 vcc_lo, 11, v0
	s_waitcnt_depctr 0xfff
	v_mul_f32_e32 v10, v11, v12
	v_cndmask_b32_e32 v8, v9, v8, vcc_lo
	v_cmp_eq_u32_e32 vcc_lo, 12, v0
	s_delay_alu instid0(VALU_DEP_3) | instskip(NEXT) | instid1(VALU_DEP_3)
	v_trunc_f32_e32 v9, v10
	v_cndmask_b32_e32 v7, v8, v7, vcc_lo
	v_xor_b32_e32 v8, s14, v1
	v_cmp_eq_u32_e32 vcc_lo, 13, v0
	s_delay_alu instid0(VALU_DEP_4) | instskip(NEXT) | instid1(VALU_DEP_4)
	v_fma_f32 v10, -v9, v13, v11
	v_cndmask_b32_e32 v6, v7, v6, vcc_lo
	s_delay_alu instid0(VALU_DEP_4)
	v_cmp_gt_i32_e32 vcc_lo, 32, v8
	v_cvt_u32_f32_e32 v7, v9
	v_cndmask_b32_e32 v1, v1, v8, vcc_lo
	v_cmp_eq_u32_e32 vcc_lo, 14, v0
	v_cndmask_b32_e32 v5, v6, v5, vcc_lo
	v_cmp_ge_f32_e64 vcc_lo, |v10|, v13
	v_add_co_ci_u32_e32 v6, vcc_lo, 0, v7, vcc_lo
	v_cmp_eq_u32_e32 vcc_lo, 15, v0
	s_delay_alu instid0(VALU_DEP_4) | instskip(NEXT) | instid1(VALU_DEP_3)
	v_cndmask_b32_e32 v0, v5, v4, vcc_lo
	v_mul_lo_u32 v4, v6, s0
	s_delay_alu instid0(VALU_DEP_1) | instskip(NEXT) | instid1(VALU_DEP_1)
	v_sub_nc_u32_e32 v2, v2, v4
	v_and_b32_e32 v2, 0xfff, v2
	v_lshlrev_b32_e32 v1, 2, v1
	s_delay_alu instid0(VALU_DEP_2)
	v_cmp_eq_u32_e32 vcc_lo, 0, v2
	ds_bpermute_b32 v1, v1, v0
	s_and_b32 exec_lo, exec_lo, vcc_lo
	s_cbranch_execz .LBB5_10
; %bb.9:
	v_lshrrev_b16 v2, 1, v3
	s_lshl_b32 s0, s15, 3
	v_cvt_f16_f32_e32 v4, v0
	s_waitcnt lgkmcnt(0)
	v_cvt_f16_f32_e32 v5, v1
	v_dual_mov_b32 v3, 0 :: v_dual_and_b32 v2, 0xffff, v2
	s_delay_alu instid0(VALU_DEP_1) | instskip(NEXT) | instid1(VALU_DEP_1)
	v_and_or_b32 v2, 0x7ffffff8, s0, v2
	v_lshlrev_b64 v[0:1], 2, v[2:3]
	s_delay_alu instid0(VALU_DEP_4) | instskip(NEXT) | instid1(VALU_DEP_2)
	v_pack_b32_f16 v2, v4, v5
	v_add_co_u32 v0, vcc_lo, s16, v0
	s_delay_alu instid0(VALU_DEP_3)
	v_add_co_ci_u32_e32 v1, vcc_lo, s17, v1, vcc_lo
	global_store_b32 v[0:1], v2, off
.LBB5_10:
	s_nop 0
	s_sendmsg sendmsg(MSG_DEALLOC_VGPRS)
	s_endpgm
	.section	.rodata,"a",@progbits
	.p2align	6, 0x0
	.amdhsa_kernel _ZN5aiter14LLGemm1_kernelI6__halfLi16EEEvPKT_S4_PS2_i
		.amdhsa_group_segment_fixed_size 2048
		.amdhsa_private_segment_fixed_size 0
		.amdhsa_kernarg_size 288
		.amdhsa_user_sgpr_count 15
		.amdhsa_user_sgpr_dispatch_ptr 0
		.amdhsa_user_sgpr_queue_ptr 0
		.amdhsa_user_sgpr_kernarg_segment_ptr 1
		.amdhsa_user_sgpr_dispatch_id 0
		.amdhsa_user_sgpr_private_segment_size 0
		.amdhsa_wavefront_size32 1
		.amdhsa_uses_dynamic_stack 0
		.amdhsa_enable_private_segment 0
		.amdhsa_system_sgpr_workgroup_id_x 1
		.amdhsa_system_sgpr_workgroup_id_y 0
		.amdhsa_system_sgpr_workgroup_id_z 0
		.amdhsa_system_sgpr_workgroup_info 0
		.amdhsa_system_vgpr_workitem_id 0
		.amdhsa_next_free_vgpr 79
		.amdhsa_next_free_sgpr 19
		.amdhsa_reserve_vcc 1
		.amdhsa_float_round_mode_32 0
		.amdhsa_float_round_mode_16_64 0
		.amdhsa_float_denorm_mode_32 3
		.amdhsa_float_denorm_mode_16_64 3
		.amdhsa_dx10_clamp 1
		.amdhsa_ieee_mode 1
		.amdhsa_fp16_overflow 0
		.amdhsa_workgroup_processor_mode 1
		.amdhsa_memory_ordered 1
		.amdhsa_forward_progress 0
		.amdhsa_shared_vgpr_count 0
		.amdhsa_exception_fp_ieee_invalid_op 0
		.amdhsa_exception_fp_denorm_src 0
		.amdhsa_exception_fp_ieee_div_zero 0
		.amdhsa_exception_fp_ieee_overflow 0
		.amdhsa_exception_fp_ieee_underflow 0
		.amdhsa_exception_fp_ieee_inexact 0
		.amdhsa_exception_int_div_zero 0
	.end_amdhsa_kernel
	.section	.text._ZN5aiter14LLGemm1_kernelI6__halfLi16EEEvPKT_S4_PS2_i,"axG",@progbits,_ZN5aiter14LLGemm1_kernelI6__halfLi16EEEvPKT_S4_PS2_i,comdat
.Lfunc_end5:
	.size	_ZN5aiter14LLGemm1_kernelI6__halfLi16EEEvPKT_S4_PS2_i, .Lfunc_end5-_ZN5aiter14LLGemm1_kernelI6__halfLi16EEEvPKT_S4_PS2_i
                                        ; -- End function
	.section	.AMDGPU.csdata,"",@progbits
; Kernel info:
; codeLenInByte = 4680
; NumSgprs: 21
; NumVgprs: 79
; ScratchSize: 0
; MemoryBound: 0
; FloatMode: 240
; IeeeMode: 1
; LDSByteSize: 2048 bytes/workgroup (compile time only)
; SGPRBlocks: 2
; VGPRBlocks: 9
; NumSGPRsForWavesPerEU: 21
; NumVGPRsForWavesPerEU: 79
; Occupancy: 16
; WaveLimiterHint : 0
; COMPUTE_PGM_RSRC2:SCRATCH_EN: 0
; COMPUTE_PGM_RSRC2:USER_SGPR: 15
; COMPUTE_PGM_RSRC2:TRAP_HANDLER: 0
; COMPUTE_PGM_RSRC2:TGID_X_EN: 1
; COMPUTE_PGM_RSRC2:TGID_Y_EN: 0
; COMPUTE_PGM_RSRC2:TGID_Z_EN: 0
; COMPUTE_PGM_RSRC2:TIDIG_COMP_CNT: 0
	.section	.text._ZN5aiter14LLGemm1_kernelI12hip_bfloat16Li2EEEvPKT_S4_PS2_i,"axG",@progbits,_ZN5aiter14LLGemm1_kernelI12hip_bfloat16Li2EEEvPKT_S4_PS2_i,comdat
	.protected	_ZN5aiter14LLGemm1_kernelI12hip_bfloat16Li2EEEvPKT_S4_PS2_i ; -- Begin function _ZN5aiter14LLGemm1_kernelI12hip_bfloat16Li2EEEvPKT_S4_PS2_i
	.globl	_ZN5aiter14LLGemm1_kernelI12hip_bfloat16Li2EEEvPKT_S4_PS2_i
	.p2align	8
	.type	_ZN5aiter14LLGemm1_kernelI12hip_bfloat16Li2EEEvPKT_S4_PS2_i,@function
_ZN5aiter14LLGemm1_kernelI12hip_bfloat16Li2EEEvPKT_S4_PS2_i: ; @_ZN5aiter14LLGemm1_kernelI12hip_bfloat16Li2EEEvPKT_S4_PS2_i
; %bb.0:
	s_clause 0x2
	s_load_b32 s2, s[0:1], 0x18
	s_load_b128 s[4:7], s[0:1], 0x0
	s_load_b64 s[8:9], s[0:1], 0x10
	v_lshlrev_b32_e32 v1, 3, v0
                                        ; implicit-def: $vgpr5
	s_waitcnt lgkmcnt(0)
	s_delay_alu instid0(VALU_DEP_1)
	v_cmp_gt_i32_e32 vcc_lo, s2, v1
                                        ; implicit-def: $vgpr1
	s_and_saveexec_b32 s3, vcc_lo
	s_cbranch_execz .LBB6_2
; %bb.1:
	s_mul_i32 s10, s15, s2
	s_mov_b32 s11, 0
	s_bfe_u32 s10, s10, 0x1d0002
	s_delay_alu instid0(SALU_CYCLE_1) | instskip(SKIP_1) | instid1(VALU_DEP_1)
	v_dual_mov_b32 v2, 0 :: v_dual_add_nc_u32 v1, s10, v0
	s_lshr_b32 s10, s2, 3
	v_lshlrev_b64 v[1:2], 4, v[1:2]
	s_delay_alu instid0(VALU_DEP_1) | instskip(NEXT) | instid1(VALU_DEP_1)
	v_add_co_u32 v1, s2, s4, v1
	v_add_co_ci_u32_e64 v2, s2, s5, v2, s2
	s_lshl_b64 s[4:5], s[10:11], 4
	s_delay_alu instid0(VALU_DEP_2) | instid1(SALU_CYCLE_1)
	v_add_co_u32 v3, s2, v1, s4
	s_delay_alu instid0(VALU_DEP_1)
	v_add_co_ci_u32_e64 v4, s2, s5, v2, s2
	s_clause 0x1
	global_load_b128 v[5:8], v[1:2], off slc dlc
	global_load_b128 v[1:4], v[3:4], off slc dlc
.LBB6_2:
	s_or_b32 exec_lo, exec_lo, s3
	s_waitcnt vmcnt(0)
	v_lshlrev_b32_e32 v17, 16, v1
	v_and_b32_e32 v18, 0xffff0000, v1
	v_mbcnt_lo_u32_b32 v1, -1, 0
	v_lshlrev_b32_e32 v9, 4, v0
	v_lshlrev_b32_e32 v13, 16, v5
	v_and_b32_e32 v5, 0xffff0000, v5
	v_lshlrev_b32_e32 v19, 16, v2
	v_lshlrev_b32_e32 v21, 16, v4
	global_load_b128 v[9:12], v9, s[6:7]
	s_load_b32 s0, s[0:1], 0x2c
	s_mov_b32 s1, exec_lo
	s_waitcnt vmcnt(0)
	v_lshlrev_b32_e32 v23, 16, v9
	v_and_b32_e32 v9, 0xffff0000, v9
	v_lshlrev_b32_e32 v16, 16, v8
	v_and_b32_e32 v8, 0xffff0000, v8
	;; [unrolled: 2-line block ×3, first 2 shown]
	v_mul_f32_e32 v5, v9, v5
	v_dual_mul_f32 v17, v23, v17 :: v_dual_lshlrev_b32 v24, 16, v11
	v_and_b32_e32 v11, 0xffff0000, v11
	v_and_b32_e32 v2, 0xffff0000, v2
	v_mul_f32_e32 v9, v9, v18
	v_lshlrev_b32_e32 v22, 16, v10
	v_and_b32_e32 v10, 0xffff0000, v10
	s_delay_alu instid0(VALU_DEP_2) | instskip(NEXT) | instid1(VALU_DEP_2)
	v_dual_fmac_f32 v17, v19, v22 :: v_dual_lshlrev_b32 v18, 16, v12
	v_dual_fmac_f32 v9, v2, v10 :: v_dual_and_b32 v2, 0xffff0000, v12
	s_delay_alu instid0(VALU_DEP_2) | instskip(NEXT) | instid1(VALU_DEP_2)
	v_fmac_f32_e32 v17, v20, v24
	v_dual_fmac_f32 v9, v3, v11 :: v_dual_and_b32 v4, 0xffff0000, v4
	v_xor_b32_e32 v3, 16, v1
	s_delay_alu instid0(VALU_DEP_3) | instskip(NEXT) | instid1(VALU_DEP_3)
	v_fmac_f32_e32 v17, v21, v18
	v_fmac_f32_e32 v9, v4, v2
	v_lshlrev_b32_e32 v15, 16, v7
	v_and_b32_e32 v7, 0xffff0000, v7
	v_cmp_gt_i32_e64 s2, 32, v3
	s_delay_alu instid0(VALU_DEP_4) | instskip(NEXT) | instid1(VALU_DEP_1)
	v_add_f32_e32 v4, v17, v9
	v_cndmask_b32_e32 v4, 0, v4, vcc_lo
	v_dual_mul_f32 v13, v23, v13 :: v_dual_lshlrev_b32 v14, 16, v6
	s_delay_alu instid0(VALU_DEP_1) | instskip(NEXT) | instid1(VALU_DEP_1)
	v_fmac_f32_e32 v13, v14, v22
	v_dual_fmac_f32 v13, v15, v24 :: v_dual_and_b32 v6, 0xffff0000, v6
	s_delay_alu instid0(VALU_DEP_1) | instskip(SKIP_1) | instid1(VALU_DEP_3)
	v_fmac_f32_e32 v5, v6, v10
	v_xor_b32_e32 v6, 8, v1
	v_fmac_f32_e32 v13, v16, v18
	s_delay_alu instid0(VALU_DEP_3) | instskip(NEXT) | instid1(VALU_DEP_1)
	v_fmac_f32_e32 v5, v7, v11
	v_fmac_f32_e32 v5, v8, v2
	v_cndmask_b32_e64 v2, v1, v3, s2
	s_delay_alu instid0(VALU_DEP_1) | instskip(NEXT) | instid1(VALU_DEP_1)
	v_dual_add_f32 v3, v13, v5 :: v_dual_lshlrev_b32 v2, 2, v2
	v_cndmask_b32_e32 v3, 0, v3, vcc_lo
	v_cmp_gt_i32_e32 vcc_lo, 32, v6
	v_cndmask_b32_e32 v6, v1, v6, vcc_lo
	s_delay_alu instid0(VALU_DEP_1)
	v_lshlrev_b32_e32 v6, 2, v6
	ds_bpermute_b32 v5, v2, v3
	ds_bpermute_b32 v2, v2, v4
	s_waitcnt lgkmcnt(0)
	v_dual_add_f32 v3, v3, v5 :: v_dual_add_f32 v2, v4, v2
	ds_bpermute_b32 v4, v6, v3
	ds_bpermute_b32 v5, v6, v2
	v_xor_b32_e32 v6, 4, v1
	s_delay_alu instid0(VALU_DEP_1) | instskip(SKIP_2) | instid1(VALU_DEP_1)
	v_cmp_gt_i32_e32 vcc_lo, 32, v6
	v_cndmask_b32_e32 v6, v1, v6, vcc_lo
	s_waitcnt lgkmcnt(1)
	v_dual_add_f32 v3, v3, v4 :: v_dual_lshlrev_b32 v6, 2, v6
	s_waitcnt lgkmcnt(0)
	v_add_f32_e32 v2, v2, v5
	ds_bpermute_b32 v4, v6, v3
	ds_bpermute_b32 v5, v6, v2
	v_xor_b32_e32 v6, 2, v1
	s_delay_alu instid0(VALU_DEP_1) | instskip(SKIP_2) | instid1(VALU_DEP_1)
	v_cmp_gt_i32_e32 vcc_lo, 32, v6
	v_cndmask_b32_e32 v6, v1, v6, vcc_lo
	s_waitcnt lgkmcnt(1)
	v_dual_add_f32 v3, v3, v4 :: v_dual_lshlrev_b32 v6, 2, v6
	s_waitcnt lgkmcnt(0)
	v_add_f32_e32 v2, v2, v5
	ds_bpermute_b32 v4, v6, v3
	ds_bpermute_b32 v5, v6, v2
	v_xor_b32_e32 v6, 1, v1
	s_delay_alu instid0(VALU_DEP_1) | instskip(SKIP_2) | instid1(VALU_DEP_1)
	v_cmp_gt_i32_e32 vcc_lo, 32, v6
	v_cndmask_b32_e32 v6, v1, v6, vcc_lo
	s_waitcnt lgkmcnt(1)
	v_dual_add_f32 v3, v3, v4 :: v_dual_lshlrev_b32 v6, 2, v6
	s_waitcnt lgkmcnt(0)
	v_dual_add_f32 v5, v2, v5 :: v_dual_and_b32 v2, 31, v0
	ds_bpermute_b32 v4, v6, v3
	ds_bpermute_b32 v6, v6, v5
	s_waitcnt lgkmcnt(0)
	v_dual_add_f32 v4, v3, v4 :: v_dual_add_f32 v3, v5, v6
	v_cmpx_gt_u32_e32 2, v2
	s_cbranch_execz .LBB6_4
; %bb.3:
	v_lshrrev_b32_e32 v5, 3, v0
	v_cmp_eq_u32_e32 vcc_lo, 1, v2
	s_delay_alu instid0(VALU_DEP_2) | instskip(NEXT) | instid1(VALU_DEP_1)
	v_dual_cndmask_b32 v6, v4, v3 :: v_dual_and_b32 v5, 0x7c, v5
	v_lshl_or_b32 v5, v2, 7, v5
	ds_store_b32 v5, v6
.LBB6_4:
	s_or_b32 exec_lo, exec_lo, s1
	s_and_b32 s0, 0xffff, s0
	v_cvt_f32_u32_e32 v7, v0
	s_lshr_b32 s1, s0, 5
	s_waitcnt lgkmcnt(0)
	v_cvt_f32_u32_e32 v5, s1
	s_barrier
	buffer_gl0_inv
	s_mov_b32 s2, exec_lo
	v_rcp_iflag_f32_e32 v6, v5
	s_waitcnt_depctr 0xfff
	v_mul_f32_e32 v6, v7, v6
	s_delay_alu instid0(VALU_DEP_1) | instskip(NEXT) | instid1(VALU_DEP_1)
	v_trunc_f32_e32 v6, v6
	v_fma_f32 v7, -v6, v5, v7
	v_cvt_u32_f32_e32 v6, v6
	s_delay_alu instid0(VALU_DEP_2) | instskip(NEXT) | instid1(VALU_DEP_2)
	v_cmp_ge_f32_e64 vcc_lo, |v7|, v5
	v_add_co_ci_u32_e32 v5, vcc_lo, 0, v6, vcc_lo
	s_delay_alu instid0(VALU_DEP_1)
	v_cmpx_gt_u16_e32 2, v5
	s_cbranch_execz .LBB6_18
; %bb.5:
	v_mul_lo_u16 v6, v5, s1
	v_cmp_eq_u16_e32 vcc_lo, 1, v5
	s_cmp_lt_u32 s0, 64
	s_delay_alu instid0(VALU_DEP_2) | instskip(NEXT) | instid1(VALU_DEP_1)
	v_sub_nc_u16 v0, v0, v6
	v_and_b32_e32 v6, 0xffff, v0
	v_and_b32_e32 v0, 0xffff, v5
	s_delay_alu instid0(VALU_DEP_2) | instskip(NEXT) | instid1(VALU_DEP_1)
	v_lshlrev_b32_e32 v6, 2, v6
	v_lshl_add_u32 v6, v0, 7, v6
	ds_load_b32 v6, v6
	s_waitcnt lgkmcnt(0)
	v_cndmask_b32_e32 v3, v3, v6, vcc_lo
	v_cmp_eq_u16_e32 vcc_lo, 0, v5
	v_cndmask_b32_e32 v4, v4, v6, vcc_lo
	s_cbranch_scc1 .LBB6_8
; %bb.6:
	s_lshr_b32 s2, s0, 6
	.p2align	6
.LBB6_7:                                ; =>This Inner Loop Header: Depth=1
	s_delay_alu instid0(SALU_CYCLE_1) | instskip(SKIP_1) | instid1(VALU_DEP_2)
	v_xor_b32_e32 v5, s2, v1
	v_cmp_eq_u32_e64 s0, 0, v0
	v_cmp_gt_i32_e32 vcc_lo, 32, v5
	v_cndmask_b32_e32 v5, v1, v5, vcc_lo
	v_cmp_eq_u32_e32 vcc_lo, 1, v0
	s_delay_alu instid0(VALU_DEP_2) | instskip(SKIP_3) | instid1(VALU_DEP_1)
	v_dual_cndmask_b32 v6, v4, v3 :: v_dual_lshlrev_b32 v5, 2, v5
	ds_bpermute_b32 v5, v5, v6
	s_waitcnt lgkmcnt(0)
	v_add_f32_e32 v5, v6, v5
	v_cndmask_b32_e32 v3, v3, v5, vcc_lo
	v_cndmask_b32_e64 v4, v4, v5, s0
	s_lshr_b32 s0, s2, 1
	s_cmp_lt_u32 s2, 2
	s_mov_b32 s2, s0
	s_cbranch_scc0 .LBB6_7
.LBB6_8:
	s_lshl_b32 s0, s1, 1
	v_cvt_f32_ubyte0_e32 v7, v2
	v_cvt_f32_u32_e32 v5, s0
	v_xor_b32_e32 v8, s1, v1
	s_delay_alu instid0(VALU_DEP_2) | instskip(NEXT) | instid1(VALU_DEP_1)
	v_rcp_iflag_f32_e32 v6, v5
	v_cmp_gt_i32_e32 vcc_lo, 32, v8
	s_waitcnt_depctr 0xfff
	v_dual_cndmask_b32 v1, v1, v8 :: v_dual_mul_f32 v6, v7, v6
	s_delay_alu instid0(VALU_DEP_1) | instskip(NEXT) | instid1(VALU_DEP_1)
	v_trunc_f32_e32 v6, v6
	v_fma_f32 v7, -v6, v5, v7
	v_cvt_u32_f32_e32 v6, v6
	s_delay_alu instid0(VALU_DEP_2) | instskip(NEXT) | instid1(VALU_DEP_2)
	v_cmp_ge_f32_e64 vcc_lo, |v7|, v5
	v_add_co_ci_u32_e32 v5, vcc_lo, 0, v6, vcc_lo
	v_cmp_eq_u32_e32 vcc_lo, 1, v0
	v_lshlrev_b32_e32 v0, 2, v1
	s_delay_alu instid0(VALU_DEP_3) | instskip(SKIP_3) | instid1(VALU_DEP_1)
	v_mul_lo_u32 v1, v5, s0
	v_cndmask_b32_e32 v3, v4, v3, vcc_lo
	ds_bpermute_b32 v0, v0, v3
	v_sub_nc_u32_e32 v1, v2, v1
	v_and_b32_e32 v1, 0xfff, v1
	s_delay_alu instid0(VALU_DEP_1)
	v_cmp_eq_u32_e32 vcc_lo, 0, v1
	s_and_b32 exec_lo, exec_lo, vcc_lo
	s_cbranch_execz .LBB6_18
; %bb.9:
	v_and_b32_e32 v1, 0x7f800000, v3
	s_delay_alu instid0(VALU_DEP_1) | instskip(SKIP_1) | instid1(SALU_CYCLE_1)
	v_cmp_ne_u32_e32 vcc_lo, 0x7f800000, v1
                                        ; implicit-def: $vgpr1
	s_and_saveexec_b32 s0, vcc_lo
	s_xor_b32 s0, exec_lo, s0
; %bb.10:
	v_bfe_u32 v1, v3, 16, 1
	s_delay_alu instid0(VALU_DEP_1)
	v_add3_u32 v1, v3, v1, 0x7fff
                                        ; implicit-def: $vgpr3
; %bb.11:
	s_and_not1_saveexec_b32 s0, s0
; %bb.12:
	v_and_b32_e32 v1, 0xffff, v3
	v_or_b32_e32 v2, 0x10000, v3
	s_delay_alu instid0(VALU_DEP_2) | instskip(NEXT) | instid1(VALU_DEP_2)
	v_cmp_eq_u32_e32 vcc_lo, 0, v1
	v_cndmask_b32_e32 v1, v2, v3, vcc_lo
; %bb.13:
	s_or_b32 exec_lo, exec_lo, s0
	s_waitcnt lgkmcnt(0)
	v_and_b32_e32 v2, 0x7f800000, v0
	s_delay_alu instid0(VALU_DEP_1) | instskip(SKIP_1) | instid1(SALU_CYCLE_1)
	v_cmp_ne_u32_e32 vcc_lo, 0x7f800000, v2
                                        ; implicit-def: $vgpr2
	s_and_saveexec_b32 s0, vcc_lo
	s_xor_b32 s0, exec_lo, s0
; %bb.14:
	v_bfe_u32 v2, v0, 16, 1
	s_delay_alu instid0(VALU_DEP_1)
	v_add3_u32 v2, v0, v2, 0x7fff
                                        ; implicit-def: $vgpr0
; %bb.15:
	s_and_not1_saveexec_b32 s0, s0
; %bb.16:
	v_and_b32_e32 v2, 0xffff, v0
	v_or_b32_e32 v3, 0x10000, v0
	s_delay_alu instid0(VALU_DEP_2) | instskip(NEXT) | instid1(VALU_DEP_2)
	v_cmp_eq_u32_e32 vcc_lo, 0, v2
	v_cndmask_b32_e32 v2, v3, v0, vcc_lo
; %bb.17:
	s_or_b32 exec_lo, exec_lo, s0
	s_and_b32 s0, s15, 0x7fffffff
	s_mov_b32 s1, 0
	v_mov_b32_e32 v0, 0
	s_lshl_b64 s[0:1], s[0:1], 2
	v_perm_b32 v1, v2, v1, 0x7060302
	s_add_u32 s0, s8, s0
	s_addc_u32 s1, s9, s1
	global_store_b32 v0, v1, s[0:1]
.LBB6_18:
	s_nop 0
	s_sendmsg sendmsg(MSG_DEALLOC_VGPRS)
	s_endpgm
	.section	.rodata,"a",@progbits
	.p2align	6, 0x0
	.amdhsa_kernel _ZN5aiter14LLGemm1_kernelI12hip_bfloat16Li2EEEvPKT_S4_PS2_i
		.amdhsa_group_segment_fixed_size 256
		.amdhsa_private_segment_fixed_size 0
		.amdhsa_kernarg_size 288
		.amdhsa_user_sgpr_count 15
		.amdhsa_user_sgpr_dispatch_ptr 0
		.amdhsa_user_sgpr_queue_ptr 0
		.amdhsa_user_sgpr_kernarg_segment_ptr 1
		.amdhsa_user_sgpr_dispatch_id 0
		.amdhsa_user_sgpr_private_segment_size 0
		.amdhsa_wavefront_size32 1
		.amdhsa_uses_dynamic_stack 0
		.amdhsa_enable_private_segment 0
		.amdhsa_system_sgpr_workgroup_id_x 1
		.amdhsa_system_sgpr_workgroup_id_y 0
		.amdhsa_system_sgpr_workgroup_id_z 0
		.amdhsa_system_sgpr_workgroup_info 0
		.amdhsa_system_vgpr_workitem_id 0
		.amdhsa_next_free_vgpr 25
		.amdhsa_next_free_sgpr 16
		.amdhsa_reserve_vcc 1
		.amdhsa_float_round_mode_32 0
		.amdhsa_float_round_mode_16_64 0
		.amdhsa_float_denorm_mode_32 3
		.amdhsa_float_denorm_mode_16_64 3
		.amdhsa_dx10_clamp 1
		.amdhsa_ieee_mode 1
		.amdhsa_fp16_overflow 0
		.amdhsa_workgroup_processor_mode 1
		.amdhsa_memory_ordered 1
		.amdhsa_forward_progress 0
		.amdhsa_shared_vgpr_count 0
		.amdhsa_exception_fp_ieee_invalid_op 0
		.amdhsa_exception_fp_denorm_src 0
		.amdhsa_exception_fp_ieee_div_zero 0
		.amdhsa_exception_fp_ieee_overflow 0
		.amdhsa_exception_fp_ieee_underflow 0
		.amdhsa_exception_fp_ieee_inexact 0
		.amdhsa_exception_int_div_zero 0
	.end_amdhsa_kernel
	.section	.text._ZN5aiter14LLGemm1_kernelI12hip_bfloat16Li2EEEvPKT_S4_PS2_i,"axG",@progbits,_ZN5aiter14LLGemm1_kernelI12hip_bfloat16Li2EEEvPKT_S4_PS2_i,comdat
.Lfunc_end6:
	.size	_ZN5aiter14LLGemm1_kernelI12hip_bfloat16Li2EEEvPKT_S4_PS2_i, .Lfunc_end6-_ZN5aiter14LLGemm1_kernelI12hip_bfloat16Li2EEEvPKT_S4_PS2_i
                                        ; -- End function
	.section	.AMDGPU.csdata,"",@progbits
; Kernel info:
; codeLenInByte = 1424
; NumSgprs: 18
; NumVgprs: 25
; ScratchSize: 0
; MemoryBound: 0
; FloatMode: 240
; IeeeMode: 1
; LDSByteSize: 256 bytes/workgroup (compile time only)
; SGPRBlocks: 2
; VGPRBlocks: 3
; NumSGPRsForWavesPerEU: 18
; NumVGPRsForWavesPerEU: 25
; Occupancy: 16
; WaveLimiterHint : 0
; COMPUTE_PGM_RSRC2:SCRATCH_EN: 0
; COMPUTE_PGM_RSRC2:USER_SGPR: 15
; COMPUTE_PGM_RSRC2:TRAP_HANDLER: 0
; COMPUTE_PGM_RSRC2:TGID_X_EN: 1
; COMPUTE_PGM_RSRC2:TGID_Y_EN: 0
; COMPUTE_PGM_RSRC2:TGID_Z_EN: 0
; COMPUTE_PGM_RSRC2:TIDIG_COMP_CNT: 0
	.section	.text._ZN5aiter14LLGemm1_kernelI12hip_bfloat16Li4EEEvPKT_S4_PS2_i,"axG",@progbits,_ZN5aiter14LLGemm1_kernelI12hip_bfloat16Li4EEEvPKT_S4_PS2_i,comdat
	.protected	_ZN5aiter14LLGemm1_kernelI12hip_bfloat16Li4EEEvPKT_S4_PS2_i ; -- Begin function _ZN5aiter14LLGemm1_kernelI12hip_bfloat16Li4EEEvPKT_S4_PS2_i
	.globl	_ZN5aiter14LLGemm1_kernelI12hip_bfloat16Li4EEEvPKT_S4_PS2_i
	.p2align	8
	.type	_ZN5aiter14LLGemm1_kernelI12hip_bfloat16Li4EEEvPKT_S4_PS2_i,@function
_ZN5aiter14LLGemm1_kernelI12hip_bfloat16Li4EEEvPKT_S4_PS2_i: ; @_ZN5aiter14LLGemm1_kernelI12hip_bfloat16Li4EEEvPKT_S4_PS2_i
; %bb.0:
	s_clause 0x2
	s_load_b32 s2, s[0:1], 0x18
	s_load_b128 s[4:7], s[0:1], 0x0
	s_load_b64 s[8:9], s[0:1], 0x10
	v_lshlrev_b32_e32 v1, 3, v0
                                        ; implicit-def: $vgpr5
                                        ; implicit-def: $vgpr9
                                        ; implicit-def: $vgpr13
	s_waitcnt lgkmcnt(0)
	s_delay_alu instid0(VALU_DEP_1)
	v_cmp_gt_i32_e32 vcc_lo, s2, v1
                                        ; implicit-def: $vgpr1
	s_and_saveexec_b32 s3, vcc_lo
	s_cbranch_execz .LBB7_2
; %bb.1:
	s_mul_i32 s10, s15, s2
	s_mov_b32 s11, 0
	s_bfe_u32 s10, s10, 0x1d0001
	s_delay_alu instid0(SALU_CYCLE_1) | instskip(SKIP_1) | instid1(SALU_CYCLE_1)
	v_dual_mov_b32 v2, 0 :: v_dual_add_nc_u32 v1, s10, v0
	s_lshr_b32 s10, s2, 3
	s_lshl_b64 s[12:13], s[10:11], 4
	s_delay_alu instid0(VALU_DEP_1) | instskip(SKIP_1) | instid1(VALU_DEP_1)
	v_lshlrev_b64 v[3:4], 4, v[1:2]
	v_add3_u32 v1, s10, s10, v1
	v_lshlrev_b64 v[5:6], 4, v[1:2]
	v_add_nc_u32_e32 v1, s10, v1
	s_delay_alu instid0(VALU_DEP_4) | instskip(NEXT) | instid1(VALU_DEP_1)
	v_add_co_u32 v3, s2, s4, v3
	v_add_co_ci_u32_e64 v4, s2, s5, v4, s2
	s_delay_alu instid0(VALU_DEP_3) | instskip(NEXT) | instid1(VALU_DEP_3)
	v_lshlrev_b64 v[1:2], 4, v[1:2]
	v_add_co_u32 v7, s2, v3, s12
	s_delay_alu instid0(VALU_DEP_1) | instskip(SKIP_1) | instid1(VALU_DEP_1)
	v_add_co_ci_u32_e64 v8, s2, s13, v4, s2
	v_add_co_u32 v5, s2, s4, v5
	v_add_co_ci_u32_e64 v6, s2, s5, v6, s2
	v_add_co_u32 v1, s2, s4, v1
	s_delay_alu instid0(VALU_DEP_1)
	v_add_co_ci_u32_e64 v2, s2, s5, v2, s2
	s_clause 0x3
	global_load_b128 v[13:16], v[3:4], off slc dlc
	global_load_b128 v[9:12], v[7:8], off slc dlc
	;; [unrolled: 1-line block ×4, first 2 shown]
.LBB7_2:
	s_or_b32 exec_lo, exec_lo, s3
	v_lshlrev_b32_e32 v17, 4, v0
	s_waitcnt vmcnt(2)
	v_lshlrev_b32_e32 v25, 16, v9
	v_and_b32_e32 v9, 0xffff0000, v9
	v_lshlrev_b32_e32 v21, 16, v13
	v_and_b32_e32 v13, 0xffff0000, v13
	global_load_b128 v[17:20], v17, s[6:7]
	s_waitcnt vmcnt(1)
	v_lshlrev_b32_e32 v33, 16, v1
	v_lshlrev_b32_e32 v29, 16, v5
	v_lshlrev_b32_e32 v35, 16, v2
	v_lshlrev_b32_e32 v37, 16, v4
	v_lshlrev_b32_e32 v31, 16, v7
	s_load_b32 s0, s[0:1], 0x2c
	s_mov_b32 s1, exec_lo
	s_waitcnt vmcnt(0)
	v_lshlrev_b32_e32 v41, 16, v17
	v_and_b32_e32 v17, 0xffff0000, v17
	v_lshlrev_b32_e32 v24, 16, v16
	v_lshlrev_b32_e32 v26, 16, v10
	v_and_b32_e32 v10, 0xffff0000, v10
	v_lshlrev_b32_e32 v39, 16, v18
	v_dual_mul_f32 v25, v41, v25 :: v_dual_lshlrev_b32 v42, 16, v20
	v_lshlrev_b32_e32 v40, 16, v19
	v_dual_mul_f32 v9, v17, v9 :: v_dual_and_b32 v18, 0xffff0000, v18
	v_and_b32_e32 v34, 0xffff0000, v1
	v_mbcnt_lo_u32_b32 v1, -1, 0
	v_and_b32_e32 v5, 0xffff0000, v5
	v_dual_mul_f32 v33, v41, v33 :: v_dual_and_b32 v16, 0xffff0000, v16
	v_lshlrev_b32_e32 v27, 16, v11
	s_delay_alu instid0(VALU_DEP_4)
	v_xor_b32_e32 v38, 16, v1
	v_and_b32_e32 v11, 0xffff0000, v11
	v_dual_mul_f32 v5, v17, v5 :: v_dual_lshlrev_b32 v28, 16, v12
	v_dual_fmac_f32 v33, v35, v39 :: v_dual_and_b32 v2, 0xffff0000, v2
	v_and_b32_e32 v19, 0xffff0000, v19
	v_dual_mul_f32 v13, v17, v13 :: v_dual_lshlrev_b32 v32, 16, v8
	v_fmac_f32_e32 v25, v26, v39
	v_dual_fmac_f32 v9, v10, v18 :: v_dual_and_b32 v12, 0xffff0000, v12
	v_mul_f32_e32 v17, v17, v34
	v_cmp_gt_i32_e64 s2, 32, v38
	v_lshlrev_b32_e32 v36, 16, v3
	v_and_b32_e32 v3, 0xffff0000, v3
	s_delay_alu instid0(VALU_DEP_4) | instskip(SKIP_3) | instid1(VALU_DEP_4)
	v_dual_fmac_f32 v17, v2, v18 :: v_dual_and_b32 v4, 0xffff0000, v4
	v_dual_fmac_f32 v9, v11, v19 :: v_dual_and_b32 v20, 0xffff0000, v20
	v_cndmask_b32_e64 v2, v1, v38, s2
	v_fmac_f32_e32 v25, v27, v40
	v_fmac_f32_e32 v17, v3, v19
	v_mul_f32_e32 v29, v41, v29
	s_delay_alu instid0(VALU_DEP_4) | instskip(NEXT) | instid1(VALU_DEP_4)
	v_dual_fmac_f32 v9, v12, v20 :: v_dual_lshlrev_b32 v2, 2, v2
	v_fmac_f32_e32 v25, v28, v42
	s_delay_alu instid0(VALU_DEP_4) | instskip(SKIP_2) | instid1(VALU_DEP_4)
	v_fmac_f32_e32 v17, v4, v20
	v_and_b32_e32 v7, 0xffff0000, v7
	v_xor_b32_e32 v10, 8, v1
	v_add_f32_e32 v4, v25, v9
	s_delay_alu instid0(VALU_DEP_1) | instskip(SKIP_2) | instid1(VALU_DEP_2)
	v_cndmask_b32_e32 v4, 0, v4, vcc_lo
	v_dual_mul_f32 v21, v41, v21 :: v_dual_lshlrev_b32 v22, 16, v14
	v_and_b32_e32 v14, 0xffff0000, v14
	v_dual_fmac_f32 v21, v22, v39 :: v_dual_lshlrev_b32 v30, 16, v6
	s_delay_alu instid0(VALU_DEP_1) | instskip(NEXT) | instid1(VALU_DEP_1)
	v_dual_fmac_f32 v29, v30, v39 :: v_dual_and_b32 v6, 0xffff0000, v6
	v_fmac_f32_e32 v5, v6, v18
	v_fmac_f32_e32 v33, v36, v40
	s_delay_alu instid0(VALU_DEP_2) | instskip(NEXT) | instid1(VALU_DEP_2)
	v_fmac_f32_e32 v5, v7, v19
	v_fmac_f32_e32 v33, v37, v42
	v_lshlrev_b32_e32 v23, 16, v15
	s_delay_alu instid0(VALU_DEP_2) | instskip(NEXT) | instid1(VALU_DEP_2)
	v_dual_add_f32 v6, v33, v17 :: v_dual_and_b32 v15, 0xffff0000, v15
	v_fmac_f32_e32 v21, v23, v40
	v_dual_fmac_f32 v13, v14, v18 :: v_dual_and_b32 v8, 0xffff0000, v8
	s_delay_alu instid0(VALU_DEP_1) | instskip(NEXT) | instid1(VALU_DEP_2)
	v_dual_cndmask_b32 v6, 0, v6 :: v_dual_fmac_f32 v5, v8, v20
	v_fmac_f32_e32 v13, v15, v19
	s_delay_alu instid0(VALU_DEP_4) | instskip(SKIP_4) | instid1(VALU_DEP_2)
	v_fmac_f32_e32 v21, v24, v42
	v_fmac_f32_e32 v29, v31, v40
	ds_bpermute_b32 v8, v2, v4
	v_fmac_f32_e32 v13, v16, v20
	v_fmac_f32_e32 v29, v32, v42
	v_add_f32_e32 v3, v21, v13
	s_delay_alu instid0(VALU_DEP_2) | instskip(NEXT) | instid1(VALU_DEP_2)
	v_add_f32_e32 v5, v29, v5
	v_cndmask_b32_e32 v3, 0, v3, vcc_lo
	s_delay_alu instid0(VALU_DEP_2)
	v_cndmask_b32_e32 v5, 0, v5, vcc_lo
	v_cmp_gt_i32_e32 vcc_lo, 32, v10
	ds_bpermute_b32 v7, v2, v3
	ds_bpermute_b32 v9, v2, v5
	;; [unrolled: 1-line block ×3, first 2 shown]
	v_cndmask_b32_e32 v10, v1, v10, vcc_lo
	s_waitcnt lgkmcnt(0)
	v_add_f32_e32 v4, v4, v8
	s_delay_alu instid0(VALU_DEP_2)
	v_dual_add_f32 v3, v3, v7 :: v_dual_lshlrev_b32 v10, 2, v10
	ds_bpermute_b32 v7, v10, v4
	v_dual_add_f32 v5, v5, v9 :: v_dual_add_f32 v2, v6, v2
	ds_bpermute_b32 v6, v10, v3
	ds_bpermute_b32 v8, v10, v5
	;; [unrolled: 1-line block ×3, first 2 shown]
	v_xor_b32_e32 v10, 4, v1
	s_delay_alu instid0(VALU_DEP_1) | instskip(SKIP_3) | instid1(VALU_DEP_2)
	v_cmp_gt_i32_e32 vcc_lo, 32, v10
	v_cndmask_b32_e32 v10, v1, v10, vcc_lo
	s_waitcnt lgkmcnt(3)
	v_add_f32_e32 v4, v4, v7
	v_lshlrev_b32_e32 v10, 2, v10
	s_waitcnt lgkmcnt(2)
	v_add_f32_e32 v3, v3, v6
	s_waitcnt lgkmcnt(0)
	v_dual_add_f32 v5, v5, v8 :: v_dual_add_f32 v2, v2, v9
	ds_bpermute_b32 v7, v10, v4
	ds_bpermute_b32 v6, v10, v3
	;; [unrolled: 1-line block ×4, first 2 shown]
	v_xor_b32_e32 v10, 2, v1
	s_delay_alu instid0(VALU_DEP_1) | instskip(SKIP_1) | instid1(VALU_DEP_1)
	v_cmp_gt_i32_e32 vcc_lo, 32, v10
	v_cndmask_b32_e32 v10, v1, v10, vcc_lo
	v_lshlrev_b32_e32 v10, 2, v10
	s_waitcnt lgkmcnt(2)
	v_dual_add_f32 v3, v3, v6 :: v_dual_add_f32 v4, v4, v7
	s_waitcnt lgkmcnt(0)
	v_dual_add_f32 v5, v5, v8 :: v_dual_add_f32 v2, v2, v9
	ds_bpermute_b32 v6, v10, v3
	ds_bpermute_b32 v7, v10, v4
	;; [unrolled: 1-line block ×4, first 2 shown]
	v_xor_b32_e32 v10, 1, v1
	s_delay_alu instid0(VALU_DEP_1) | instskip(SKIP_1) | instid1(VALU_DEP_1)
	v_cmp_gt_i32_e32 vcc_lo, 32, v10
	v_cndmask_b32_e32 v10, v1, v10, vcc_lo
	v_lshlrev_b32_e32 v10, 2, v10
	s_waitcnt lgkmcnt(3)
	v_add_f32_e32 v6, v3, v6
	s_waitcnt lgkmcnt(1)
	v_dual_add_f32 v4, v4, v7 :: v_dual_add_f32 v5, v5, v8
	s_waitcnt lgkmcnt(0)
	v_dual_add_f32 v2, v2, v9 :: v_dual_and_b32 v3, 31, v0
	ds_bpermute_b32 v7, v10, v6
	ds_bpermute_b32 v8, v10, v4
	;; [unrolled: 1-line block ×4, first 2 shown]
	s_waitcnt lgkmcnt(2)
	v_dual_add_f32 v7, v6, v7 :: v_dual_add_f32 v6, v4, v8
	s_waitcnt lgkmcnt(0)
	v_dual_add_f32 v5, v5, v9 :: v_dual_add_f32 v4, v2, v10
	v_cmpx_gt_u32_e32 4, v3
	s_cbranch_execz .LBB7_4
; %bb.3:
	v_cmp_eq_u32_e32 vcc_lo, 1, v3
	v_lshrrev_b32_e32 v2, 3, v0
	v_cndmask_b32_e32 v8, v7, v6, vcc_lo
	v_cmp_eq_u32_e32 vcc_lo, 2, v3
	s_delay_alu instid0(VALU_DEP_3) | instskip(NEXT) | instid1(VALU_DEP_3)
	v_and_b32_e32 v2, 0x7c, v2
	v_cndmask_b32_e32 v8, v8, v5, vcc_lo
	v_cmp_eq_u32_e32 vcc_lo, 3, v3
	s_delay_alu instid0(VALU_DEP_3) | instskip(NEXT) | instid1(VALU_DEP_3)
	v_lshl_or_b32 v2, v3, 7, v2
	v_cndmask_b32_e32 v8, v8, v4, vcc_lo
	ds_store_b32 v2, v8
.LBB7_4:
	s_or_b32 exec_lo, exec_lo, s1
	s_and_b32 s0, 0xffff, s0
	v_cvt_f32_u32_e32 v9, v0
	s_lshr_b32 s2, s0, 5
	s_waitcnt lgkmcnt(0)
	v_cvt_f32_u32_e32 v2, s2
	s_barrier
	buffer_gl0_inv
	s_mov_b32 s1, exec_lo
	v_rcp_iflag_f32_e32 v8, v2
	s_waitcnt_depctr 0xfff
	v_mul_f32_e32 v8, v9, v8
	s_delay_alu instid0(VALU_DEP_1) | instskip(NEXT) | instid1(VALU_DEP_1)
	v_trunc_f32_e32 v8, v8
	v_fma_f32 v9, -v8, v2, v9
	v_cvt_u32_f32_e32 v8, v8
	s_delay_alu instid0(VALU_DEP_2) | instskip(NEXT) | instid1(VALU_DEP_2)
	v_cmp_ge_f32_e64 vcc_lo, |v9|, v2
	v_add_co_ci_u32_e32 v2, vcc_lo, 0, v8, vcc_lo
	s_delay_alu instid0(VALU_DEP_1)
	v_cmpx_gt_u16_e32 4, v2
	s_cbranch_execz .LBB7_18
; %bb.5:
	v_mul_lo_u16 v8, v2, s2
	v_cmp_eq_u16_e32 vcc_lo, 3, v2
	s_cmp_lt_u32 s0, 64
	s_delay_alu instid0(VALU_DEP_2) | instskip(NEXT) | instid1(VALU_DEP_1)
	v_sub_nc_u16 v0, v0, v8
	v_and_b32_e32 v8, 0xffff, v0
	v_and_b32_e32 v0, 0xffff, v2
	s_delay_alu instid0(VALU_DEP_2) | instskip(NEXT) | instid1(VALU_DEP_1)
	v_lshlrev_b32_e32 v8, 2, v8
	v_lshl_add_u32 v8, v0, 7, v8
	ds_load_b32 v8, v8
	s_waitcnt lgkmcnt(0)
	v_cndmask_b32_e32 v4, v4, v8, vcc_lo
	v_cmp_eq_u16_e32 vcc_lo, 2, v2
	v_cndmask_b32_e32 v5, v5, v8, vcc_lo
	v_cmp_eq_u16_e32 vcc_lo, 1, v2
	;; [unrolled: 2-line block ×3, first 2 shown]
	v_cndmask_b32_e32 v7, v7, v8, vcc_lo
	s_cbranch_scc1 .LBB7_8
; %bb.6:
	s_lshr_b32 s3, s0, 6
	.p2align	6
.LBB7_7:                                ; =>This Inner Loop Header: Depth=1
	s_delay_alu instid0(SALU_CYCLE_1) | instskip(SKIP_2) | instid1(VALU_DEP_3)
	v_xor_b32_e32 v9, s3, v1
	v_cmp_eq_u32_e32 vcc_lo, 1, v0
	v_cmp_eq_u32_e64 s0, 2, v0
	v_cmp_gt_i32_e64 s1, 32, v9
	s_delay_alu instid0(VALU_DEP_1) | instskip(SKIP_2) | instid1(VALU_DEP_3)
	v_cndmask_b32_e64 v9, v1, v9, s1
	v_cndmask_b32_e32 v8, v7, v6, vcc_lo
	v_cmp_eq_u32_e64 s1, 3, v0
	v_lshlrev_b32_e32 v9, 2, v9
	s_delay_alu instid0(VALU_DEP_3) | instskip(NEXT) | instid1(VALU_DEP_1)
	v_cndmask_b32_e64 v8, v8, v5, s0
	v_cndmask_b32_e64 v8, v8, v4, s1
	ds_bpermute_b32 v9, v9, v8
	s_waitcnt lgkmcnt(0)
	v_add_f32_e32 v8, v8, v9
	s_delay_alu instid0(VALU_DEP_1)
	v_cndmask_b32_e32 v6, v6, v8, vcc_lo
	v_cmp_eq_u32_e32 vcc_lo, 0, v0
	v_cndmask_b32_e64 v4, v4, v8, s1
	v_cndmask_b32_e64 v5, v5, v8, s0
	s_lshr_b32 s0, s3, 1
	s_cmp_lt_u32 s3, 2
	v_cndmask_b32_e32 v7, v7, v8, vcc_lo
	s_mov_b32 s3, s0
	s_cbranch_scc0 .LBB7_7
.LBB7_8:
	s_lshl_b32 s0, s2, 1
	v_cvt_f32_ubyte0_e32 v10, v3
	v_cvt_f32_u32_e32 v8, s0
	v_cmp_eq_u32_e32 vcc_lo, 1, v0
	s_delay_alu instid0(VALU_DEP_2) | instskip(SKIP_3) | instid1(VALU_DEP_3)
	v_rcp_iflag_f32_e32 v9, v8
	v_cndmask_b32_e32 v6, v7, v6, vcc_lo
	v_xor_b32_e32 v7, s2, v1
	v_cmp_eq_u32_e32 vcc_lo, 2, v0
	v_cndmask_b32_e32 v5, v6, v5, vcc_lo
	s_delay_alu instid0(VALU_DEP_3) | instskip(SKIP_3) | instid1(VALU_DEP_2)
	v_cmp_gt_i32_e32 vcc_lo, 32, v7
	s_waitcnt_depctr 0xfff
	v_mul_f32_e32 v9, v10, v9
	v_cndmask_b32_e32 v1, v1, v7, vcc_lo
	v_trunc_f32_e32 v9, v9
	s_delay_alu instid0(VALU_DEP_1) | instskip(SKIP_1) | instid1(VALU_DEP_2)
	v_fma_f32 v10, -v9, v8, v10
	v_cvt_u32_f32_e32 v6, v9
	v_cmp_ge_f32_e64 vcc_lo, |v10|, v8
	s_delay_alu instid0(VALU_DEP_2) | instskip(SKIP_3) | instid1(VALU_DEP_4)
	v_add_co_ci_u32_e32 v6, vcc_lo, 0, v6, vcc_lo
	v_cmp_eq_u32_e32 vcc_lo, 3, v0
	v_lshlrev_b32_e32 v0, 2, v1
	v_cndmask_b32_e32 v4, v5, v4, vcc_lo
	v_mul_lo_u32 v5, v6, s0
	ds_bpermute_b32 v1, v0, v4
	v_sub_nc_u32_e32 v0, v3, v5
	s_delay_alu instid0(VALU_DEP_1) | instskip(NEXT) | instid1(VALU_DEP_1)
	v_and_b32_e32 v0, 0xfff, v0
	v_cmp_eq_u32_e32 vcc_lo, 0, v0
	s_and_b32 exec_lo, exec_lo, vcc_lo
	s_cbranch_execz .LBB7_18
; %bb.9:
	v_and_b32_e32 v0, 0x7f800000, v4
	s_delay_alu instid0(VALU_DEP_1) | instskip(SKIP_1) | instid1(SALU_CYCLE_1)
	v_cmp_ne_u32_e32 vcc_lo, 0x7f800000, v0
                                        ; implicit-def: $vgpr0
	s_and_saveexec_b32 s0, vcc_lo
	s_xor_b32 s0, exec_lo, s0
; %bb.10:
	v_bfe_u32 v0, v4, 16, 1
	s_delay_alu instid0(VALU_DEP_1)
	v_add3_u32 v0, v4, v0, 0x7fff
                                        ; implicit-def: $vgpr4
; %bb.11:
	s_and_not1_saveexec_b32 s0, s0
; %bb.12:
	v_and_b32_e32 v0, 0xffff, v4
	v_or_b32_e32 v3, 0x10000, v4
	s_delay_alu instid0(VALU_DEP_2) | instskip(NEXT) | instid1(VALU_DEP_2)
	v_cmp_eq_u32_e32 vcc_lo, 0, v0
	v_cndmask_b32_e32 v0, v3, v4, vcc_lo
; %bb.13:
	s_or_b32 exec_lo, exec_lo, s0
	s_waitcnt lgkmcnt(0)
	v_and_b32_e32 v3, 0x7f800000, v1
	s_delay_alu instid0(VALU_DEP_1) | instskip(SKIP_1) | instid1(SALU_CYCLE_1)
	v_cmp_ne_u32_e32 vcc_lo, 0x7f800000, v3
                                        ; implicit-def: $vgpr3
	s_and_saveexec_b32 s0, vcc_lo
	s_xor_b32 s0, exec_lo, s0
; %bb.14:
	v_bfe_u32 v3, v1, 16, 1
	s_delay_alu instid0(VALU_DEP_1)
	v_add3_u32 v3, v1, v3, 0x7fff
                                        ; implicit-def: $vgpr1
; %bb.15:
	s_and_not1_saveexec_b32 s0, s0
; %bb.16:
	v_and_b32_e32 v3, 0xffff, v1
	v_or_b32_e32 v4, 0x10000, v1
	s_delay_alu instid0(VALU_DEP_2) | instskip(NEXT) | instid1(VALU_DEP_2)
	v_cmp_eq_u32_e32 vcc_lo, 0, v3
	v_cndmask_b32_e32 v3, v4, v1, vcc_lo
; %bb.17:
	s_or_b32 exec_lo, exec_lo, s0
	v_lshrrev_b16 v1, 1, v2
	s_lshl_b32 s0, s15, 1
	s_delay_alu instid0(VALU_DEP_2) | instskip(NEXT) | instid1(VALU_DEP_2)
	v_perm_b32 v0, v3, v0, 0x7060302
	v_dual_mov_b32 v2, 0 :: v_dual_and_b32 v1, 0xffff, v1
	s_delay_alu instid0(VALU_DEP_1) | instskip(NEXT) | instid1(VALU_DEP_1)
	v_and_or_b32 v1, 0x7ffffffe, s0, v1
	v_lshlrev_b64 v[1:2], 2, v[1:2]
	s_delay_alu instid0(VALU_DEP_1) | instskip(NEXT) | instid1(VALU_DEP_2)
	v_add_co_u32 v1, vcc_lo, s8, v1
	v_add_co_ci_u32_e32 v2, vcc_lo, s9, v2, vcc_lo
	global_store_b32 v[1:2], v0, off
.LBB7_18:
	s_nop 0
	s_sendmsg sendmsg(MSG_DEALLOC_VGPRS)
	s_endpgm
	.section	.rodata,"a",@progbits
	.p2align	6, 0x0
	.amdhsa_kernel _ZN5aiter14LLGemm1_kernelI12hip_bfloat16Li4EEEvPKT_S4_PS2_i
		.amdhsa_group_segment_fixed_size 512
		.amdhsa_private_segment_fixed_size 0
		.amdhsa_kernarg_size 288
		.amdhsa_user_sgpr_count 15
		.amdhsa_user_sgpr_dispatch_ptr 0
		.amdhsa_user_sgpr_queue_ptr 0
		.amdhsa_user_sgpr_kernarg_segment_ptr 1
		.amdhsa_user_sgpr_dispatch_id 0
		.amdhsa_user_sgpr_private_segment_size 0
		.amdhsa_wavefront_size32 1
		.amdhsa_uses_dynamic_stack 0
		.amdhsa_enable_private_segment 0
		.amdhsa_system_sgpr_workgroup_id_x 1
		.amdhsa_system_sgpr_workgroup_id_y 0
		.amdhsa_system_sgpr_workgroup_id_z 0
		.amdhsa_system_sgpr_workgroup_info 0
		.amdhsa_system_vgpr_workitem_id 0
		.amdhsa_next_free_vgpr 43
		.amdhsa_next_free_sgpr 16
		.amdhsa_reserve_vcc 1
		.amdhsa_float_round_mode_32 0
		.amdhsa_float_round_mode_16_64 0
		.amdhsa_float_denorm_mode_32 3
		.amdhsa_float_denorm_mode_16_64 3
		.amdhsa_dx10_clamp 1
		.amdhsa_ieee_mode 1
		.amdhsa_fp16_overflow 0
		.amdhsa_workgroup_processor_mode 1
		.amdhsa_memory_ordered 1
		.amdhsa_forward_progress 0
		.amdhsa_shared_vgpr_count 0
		.amdhsa_exception_fp_ieee_invalid_op 0
		.amdhsa_exception_fp_denorm_src 0
		.amdhsa_exception_fp_ieee_div_zero 0
		.amdhsa_exception_fp_ieee_overflow 0
		.amdhsa_exception_fp_ieee_underflow 0
		.amdhsa_exception_fp_ieee_inexact 0
		.amdhsa_exception_int_div_zero 0
	.end_amdhsa_kernel
	.section	.text._ZN5aiter14LLGemm1_kernelI12hip_bfloat16Li4EEEvPKT_S4_PS2_i,"axG",@progbits,_ZN5aiter14LLGemm1_kernelI12hip_bfloat16Li4EEEvPKT_S4_PS2_i,comdat
.Lfunc_end7:
	.size	_ZN5aiter14LLGemm1_kernelI12hip_bfloat16Li4EEEvPKT_S4_PS2_i, .Lfunc_end7-_ZN5aiter14LLGemm1_kernelI12hip_bfloat16Li4EEEvPKT_S4_PS2_i
                                        ; -- End function
	.section	.AMDGPU.csdata,"",@progbits
; Kernel info:
; codeLenInByte = 1984
; NumSgprs: 18
; NumVgprs: 43
; ScratchSize: 0
; MemoryBound: 0
; FloatMode: 240
; IeeeMode: 1
; LDSByteSize: 512 bytes/workgroup (compile time only)
; SGPRBlocks: 2
; VGPRBlocks: 5
; NumSGPRsForWavesPerEU: 18
; NumVGPRsForWavesPerEU: 43
; Occupancy: 16
; WaveLimiterHint : 0
; COMPUTE_PGM_RSRC2:SCRATCH_EN: 0
; COMPUTE_PGM_RSRC2:USER_SGPR: 15
; COMPUTE_PGM_RSRC2:TRAP_HANDLER: 0
; COMPUTE_PGM_RSRC2:TGID_X_EN: 1
; COMPUTE_PGM_RSRC2:TGID_Y_EN: 0
; COMPUTE_PGM_RSRC2:TGID_Z_EN: 0
; COMPUTE_PGM_RSRC2:TIDIG_COMP_CNT: 0
	.section	.text._ZN5aiter14LLGemm1_kernelI12hip_bfloat16Li8EEEvPKT_S4_PS2_i,"axG",@progbits,_ZN5aiter14LLGemm1_kernelI12hip_bfloat16Li8EEEvPKT_S4_PS2_i,comdat
	.protected	_ZN5aiter14LLGemm1_kernelI12hip_bfloat16Li8EEEvPKT_S4_PS2_i ; -- Begin function _ZN5aiter14LLGemm1_kernelI12hip_bfloat16Li8EEEvPKT_S4_PS2_i
	.globl	_ZN5aiter14LLGemm1_kernelI12hip_bfloat16Li8EEEvPKT_S4_PS2_i
	.p2align	8
	.type	_ZN5aiter14LLGemm1_kernelI12hip_bfloat16Li8EEEvPKT_S4_PS2_i,@function
_ZN5aiter14LLGemm1_kernelI12hip_bfloat16Li8EEEvPKT_S4_PS2_i: ; @_ZN5aiter14LLGemm1_kernelI12hip_bfloat16Li8EEEvPKT_S4_PS2_i
; %bb.0:
	s_clause 0x2
	s_load_b32 s2, s[0:1], 0x18
	s_load_b128 s[4:7], s[0:1], 0x0
	s_load_b64 s[8:9], s[0:1], 0x10
	v_lshlrev_b32_e32 v1, 3, v0
                                        ; implicit-def: $vgpr5
                                        ; implicit-def: $vgpr13
                                        ; implicit-def: $vgpr21
                                        ; implicit-def: $vgpr25
                                        ; implicit-def: $vgpr29
                                        ; implicit-def: $vgpr9
                                        ; implicit-def: $vgpr17
	s_waitcnt lgkmcnt(0)
	s_delay_alu instid0(VALU_DEP_1)
	v_cmp_gt_i32_e32 vcc_lo, s2, v1
                                        ; implicit-def: $vgpr1
	s_and_saveexec_b32 s3, vcc_lo
	s_cbranch_execz .LBB8_2
; %bb.1:
	s_mul_i32 s10, s15, s2
	s_mov_b32 s11, 0
	s_and_b32 s10, s10, 0x1fffffff
	s_delay_alu instid0(SALU_CYCLE_1) | instskip(SKIP_1) | instid1(SALU_CYCLE_1)
	v_dual_mov_b32 v2, 0 :: v_dual_add_nc_u32 v1, s10, v0
	s_lshr_b32 s10, s2, 3
	s_lshl_b64 s[12:13], s[10:11], 4
	s_delay_alu instid0(VALU_DEP_1) | instskip(SKIP_1) | instid1(VALU_DEP_1)
	v_lshlrev_b64 v[3:4], 4, v[1:2]
	v_add3_u32 v1, s10, s10, v1
	v_lshlrev_b64 v[5:6], 4, v[1:2]
	s_delay_alu instid0(VALU_DEP_3) | instskip(NEXT) | instid1(VALU_DEP_1)
	v_add_co_u32 v3, s2, s4, v3
	v_add_co_ci_u32_e64 v4, s2, s5, v4, s2
	v_add_nc_u32_e32 v1, s10, v1
	s_delay_alu instid0(VALU_DEP_3) | instskip(NEXT) | instid1(VALU_DEP_1)
	v_add_co_u32 v7, s2, v3, s12
	v_add_co_ci_u32_e64 v8, s2, s13, v4, s2
	s_delay_alu instid0(VALU_DEP_3)
	v_lshlrev_b64 v[13:14], 4, v[1:2]
	v_add_nc_u32_e32 v1, s10, v1
	s_clause 0x1
	global_load_b128 v[17:20], v[3:4], off slc dlc
	global_load_b128 v[9:12], v[7:8], off slc dlc
	v_add_co_u32 v3, s2, s4, v5
	s_delay_alu instid0(VALU_DEP_1) | instskip(SKIP_3) | instid1(VALU_DEP_1)
	v_add_co_ci_u32_e64 v4, s2, s5, v6, s2
	v_lshlrev_b64 v[5:6], 4, v[1:2]
	v_add_nc_u32_e32 v1, s10, v1
	v_add_co_u32 v7, s2, s4, v13
	v_add_co_ci_u32_e64 v8, s2, s5, v14, s2
	s_delay_alu instid0(VALU_DEP_3) | instskip(SKIP_2) | instid1(VALU_DEP_1)
	v_lshlrev_b64 v[13:14], 4, v[1:2]
	v_add_nc_u32_e32 v1, s10, v1
	v_add_co_u32 v5, s2, s4, v5
	v_add_co_ci_u32_e64 v6, s2, s5, v6, s2
	s_delay_alu instid0(VALU_DEP_3) | instskip(SKIP_2) | instid1(VALU_DEP_1)
	v_lshlrev_b64 v[15:16], 4, v[1:2]
	v_add_nc_u32_e32 v1, s10, v1
	v_add_co_u32 v13, s2, s4, v13
	v_add_co_ci_u32_e64 v14, s2, s5, v14, s2
	s_delay_alu instid0(VALU_DEP_3) | instskip(SKIP_1) | instid1(VALU_DEP_1)
	v_lshlrev_b64 v[1:2], 4, v[1:2]
	v_add_co_u32 v33, s2, s4, v15
	v_add_co_ci_u32_e64 v34, s2, s5, v16, s2
	s_delay_alu instid0(VALU_DEP_3) | instskip(NEXT) | instid1(VALU_DEP_1)
	v_add_co_u32 v1, s2, s4, v1
	v_add_co_ci_u32_e64 v2, s2, s5, v2, s2
	s_clause 0x5
	global_load_b128 v[29:32], v[3:4], off slc dlc
	global_load_b128 v[25:28], v[7:8], off slc dlc
	global_load_b128 v[21:24], v[5:6], off slc dlc
	global_load_b128 v[13:16], v[13:14], off slc dlc
	global_load_b128 v[5:8], v[33:34], off slc dlc
	global_load_b128 v[1:4], v[1:2], off slc dlc
.LBB8_2:
	s_or_b32 exec_lo, exec_lo, s3
	s_waitcnt vmcnt(1)
	v_lshlrev_b32_e32 v63, 16, v6
	s_waitcnt vmcnt(0)
	v_lshlrev_b32_e32 v68, 16, v2
	v_and_b32_e32 v6, 0xffff0000, v6
	v_lshlrev_b32_e32 v33, 4, v0
	v_lshlrev_b32_e32 v49, 16, v25
	;; [unrolled: 1-line block ×4, first 2 shown]
	v_and_b32_e32 v21, 0xffff0000, v21
	global_load_b128 v[33:36], v33, s[6:7]
	v_lshlrev_b32_e32 v51, 16, v27
	v_lshlrev_b32_e32 v67, 16, v1
	v_lshlrev_b32_e32 v57, 16, v13
	v_lshlrev_b32_e32 v61, 16, v5
	v_lshlrev_b32_e32 v65, 16, v8
	v_and_b32_e32 v1, 0xffff0000, v1
	v_lshlrev_b32_e32 v41, 16, v9
	v_lshlrev_b32_e32 v59, 16, v15
	v_and_b32_e32 v15, 0xffff0000, v15
	v_and_b32_e32 v25, 0xffff0000, v25
	v_lshlrev_b32_e32 v69, 16, v3
	v_and_b32_e32 v3, 0xffff0000, v3
	s_load_b32 s0, s[0:1], 0x2c
	s_mov_b32 s1, exec_lo
	s_waitcnt vmcnt(0)
	v_lshlrev_b32_e32 v73, 16, v33
	v_lshlrev_b32_e32 v40, 16, v20
	v_and_b32_e32 v20, 0xffff0000, v20
	v_lshlrev_b32_e32 v71, 16, v34
	v_and_b32_e32 v33, 0xffff0000, v33
	v_dual_mul_f32 v49, v73, v49 :: v_dual_lshlrev_b32 v50, 16, v26
	v_dual_mul_f32 v45, v73, v45 :: v_dual_lshlrev_b32 v74, 16, v36
	s_delay_alu instid0(VALU_DEP_3) | instskip(NEXT) | instid1(VALU_DEP_3)
	v_dual_mul_f32 v21, v33, v21 :: v_dual_lshlrev_b32 v72, 16, v35
	v_dual_fmac_f32 v49, v50, v71 :: v_dual_lshlrev_b32 v56, 16, v24
	v_and_b32_e32 v34, 0xffff0000, v34
	v_dual_mul_f32 v61, v73, v61 :: v_dual_lshlrev_b32 v44, 16, v12
	v_dual_mul_f32 v67, v73, v67 :: v_dual_and_b32 v12, 0xffff0000, v12
	s_delay_alu instid0(VALU_DEP_4)
	v_dual_fmac_f32 v49, v51, v72 :: v_dual_and_b32 v62, 0xffff0000, v5
	v_lshlrev_b32_e32 v37, 16, v17
	v_mbcnt_lo_u32_b32 v5, -1, 0
	v_and_b32_e32 v13, 0xffff0000, v13
	v_and_b32_e32 v26, 0xffff0000, v26
	v_mul_f32_e32 v62, v33, v62
	v_dual_mul_f32 v37, v73, v37 :: v_dual_lshlrev_b32 v38, 16, v18
	v_and_b32_e32 v35, 0xffff0000, v35
	v_dual_mul_f32 v13, v33, v13 :: v_dual_lshlrev_b32 v64, 16, v7
	v_and_b32_e32 v7, 0xffff0000, v7
	v_dual_fmac_f32 v67, v68, v71 :: v_dual_fmac_f32 v62, v6, v34
	v_and_b32_e32 v17, 0xffff0000, v17
	v_lshlrev_b32_e32 v42, 16, v10
	v_dual_mul_f32 v57, v73, v57 :: v_dual_and_b32 v10, 0xffff0000, v10
	v_dual_mul_f32 v1, v33, v1 :: v_dual_lshlrev_b32 v52, 16, v28
	v_dual_fmac_f32 v37, v38, v71 :: v_dual_and_b32 v28, 0xffff0000, v28
	v_dual_fmac_f32 v61, v63, v71 :: v_dual_lshlrev_b32 v58, 16, v14
	v_and_b32_e32 v14, 0xffff0000, v14
	v_and_b32_e32 v8, 0xffff0000, v8
	;; [unrolled: 1-line block ×3, first 2 shown]
	v_fmac_f32_e32 v62, v7, v35
	v_lshlrev_b32_e32 v39, 16, v19
	v_dual_mul_f32 v41, v73, v41 :: v_dual_and_b32 v18, 0xffff0000, v18
	v_dual_mul_f32 v17, v33, v17 :: v_dual_lshlrev_b32 v46, 16, v30
	v_dual_fmac_f32 v57, v58, v71 :: v_dual_lshlrev_b32 v70, 16, v4
	v_dual_fmac_f32 v13, v14, v34 :: v_dual_fmac_f32 v62, v8, v36
	v_fmac_f32_e32 v37, v39, v72
	s_delay_alu instid0(VALU_DEP_4)
	v_dual_fmac_f32 v17, v18, v34 :: v_dual_lshlrev_b32 v60, 16, v16
	v_and_b32_e32 v16, 0xffff0000, v16
	v_xor_b32_e32 v66, 16, v5
	v_fmac_f32_e32 v13, v15, v35
	v_fmac_f32_e32 v37, v40, v74
	v_and_b32_e32 v19, 0xffff0000, v19
	v_fmac_f32_e32 v57, v59, v72
	v_cmp_gt_i32_e64 s2, 32, v66
	v_dual_fmac_f32 v13, v16, v36 :: v_dual_and_b32 v30, 0xffff0000, v30
	s_delay_alu instid0(VALU_DEP_4) | instskip(NEXT) | instid1(VALU_DEP_4)
	v_fmac_f32_e32 v17, v19, v35
	v_fmac_f32_e32 v57, v60, v74
	v_lshlrev_b32_e32 v47, 16, v31
	v_cndmask_b32_e64 v66, v5, v66, s2
	v_xor_b32_e32 v18, 8, v5
	s_delay_alu instid0(VALU_DEP_4) | instskip(SKIP_1) | instid1(VALU_DEP_4)
	v_dual_add_f32 v8, v57, v13 :: v_dual_and_b32 v31, 0xffff0000, v31
	v_and_b32_e32 v29, 0xffff0000, v29
	v_dual_fmac_f32 v45, v46, v71 :: v_dual_lshlrev_b32 v66, 2, v66
	s_delay_alu instid0(VALU_DEP_3) | instskip(NEXT) | instid1(VALU_DEP_3)
	v_dual_mul_f32 v25, v33, v25 :: v_dual_cndmask_b32 v8, 0, v8
	v_dual_mul_f32 v29, v33, v29 :: v_dual_lshlrev_b32 v48, 16, v32
	v_and_b32_e32 v32, 0xffff0000, v32
	s_delay_alu instid0(VALU_DEP_4)
	v_fmac_f32_e32 v45, v47, v72
	ds_bpermute_b32 v15, v66, v8
	v_and_b32_e32 v27, 0xffff0000, v27
	v_fmac_f32_e32 v29, v30, v34
	v_fmac_f32_e32 v25, v26, v34
	;; [unrolled: 1-line block ×8, first 2 shown]
	s_delay_alu instid0(VALU_DEP_4) | instskip(NEXT) | instid1(VALU_DEP_4)
	v_fmac_f32_e32 v61, v65, v74
	v_fmac_f32_e32 v29, v32, v36
	v_lshlrev_b32_e32 v43, 16, v11
	v_fmac_f32_e32 v25, v28, v36
	v_and_b32_e32 v11, 0xffff0000, v11
	s_delay_alu instid0(VALU_DEP_2)
	v_dual_fmac_f32 v67, v70, v74 :: v_dual_add_f32 v6, v49, v25
	s_waitcnt lgkmcnt(0)
	v_dual_add_f32 v8, v8, v15 :: v_dual_mul_f32 v53, v73, v53
	v_dual_fmac_f32 v41, v42, v71 :: v_dual_lshlrev_b32 v54, 16, v22
	v_and_b32_e32 v22, 0xffff0000, v22
	v_and_b32_e32 v2, 0xffff0000, v2
	;; [unrolled: 1-line block ×3, first 2 shown]
	v_cndmask_b32_e32 v6, 0, v6, vcc_lo
	v_dual_fmac_f32 v53, v54, v71 :: v_dual_and_b32 v24, 0xffff0000, v24
	s_delay_alu instid0(VALU_DEP_4) | instskip(SKIP_3) | instid1(VALU_DEP_1)
	v_fmac_f32_e32 v1, v2, v34
	v_fmac_f32_e32 v21, v22, v34
	ds_bpermute_b32 v13, v66, v6
	v_fmac_f32_e32 v1, v3, v35
	v_dual_fmac_f32 v1, v4, v36 :: v_dual_add_f32 v4, v45, v29
	v_and_b32_e32 v9, 0xffff0000, v9
	v_fmac_f32_e32 v41, v43, v72
	s_delay_alu instid0(VALU_DEP_3) | instskip(NEXT) | instid1(VALU_DEP_3)
	v_dual_add_f32 v1, v67, v1 :: v_dual_cndmask_b32 v4, 0, v4
	v_mul_f32_e32 v9, v33, v9
	s_delay_alu instid0(VALU_DEP_3) | instskip(NEXT) | instid1(VALU_DEP_3)
	v_fmac_f32_e32 v41, v44, v74
	v_cndmask_b32_e32 v1, 0, v1, vcc_lo
	s_delay_alu instid0(VALU_DEP_3) | instskip(SKIP_1) | instid1(VALU_DEP_1)
	v_fmac_f32_e32 v9, v10, v34
	s_waitcnt lgkmcnt(0)
	v_dual_add_f32 v6, v6, v13 :: v_dual_fmac_f32 v9, v11, v35
	v_fmac_f32_e32 v17, v20, v36
	s_delay_alu instid0(VALU_DEP_2)
	v_fmac_f32_e32 v9, v12, v36
	ds_bpermute_b32 v12, v66, v4
	v_add_f32_e32 v2, v37, v17
	ds_bpermute_b32 v17, v66, v1
	v_add_f32_e32 v3, v41, v9
	v_add_f32_e32 v9, v61, v62
	s_delay_alu instid0(VALU_DEP_2) | instskip(NEXT) | instid1(VALU_DEP_2)
	v_dual_cndmask_b32 v2, 0, v2 :: v_dual_cndmask_b32 v3, 0, v3
	v_cndmask_b32_e32 v9, 0, v9, vcc_lo
	ds_bpermute_b32 v10, v66, v2
	ds_bpermute_b32 v11, v66, v3
	;; [unrolled: 1-line block ×3, first 2 shown]
	s_waitcnt lgkmcnt(4)
	v_dual_add_f32 v4, v4, v12 :: v_dual_lshlrev_b32 v55, 16, v23
	v_and_b32_e32 v23, 0xffff0000, v23
	s_waitcnt lgkmcnt(3)
	v_add_f32_e32 v1, v1, v17
	s_delay_alu instid0(VALU_DEP_3) | instskip(NEXT) | instid1(VALU_DEP_3)
	v_fmac_f32_e32 v53, v55, v72
	v_fmac_f32_e32 v21, v23, v35
	s_delay_alu instid0(VALU_DEP_2) | instskip(SKIP_1) | instid1(VALU_DEP_2)
	v_fmac_f32_e32 v53, v56, v74
	s_waitcnt lgkmcnt(2)
	v_dual_fmac_f32 v21, v24, v36 :: v_dual_add_f32 v2, v2, v10
	s_waitcnt lgkmcnt(1)
	v_add_f32_e32 v3, v3, v11
	s_waitcnt lgkmcnt(0)
	v_add_f32_e32 v9, v9, v16
	v_add_f32_e32 v7, v53, v21
	s_delay_alu instid0(VALU_DEP_1) | instskip(SKIP_3) | instid1(VALU_DEP_1)
	v_cndmask_b32_e32 v7, 0, v7, vcc_lo
	v_cmp_gt_i32_e32 vcc_lo, 32, v18
	ds_bpermute_b32 v14, v66, v7
	v_cndmask_b32_e32 v18, v5, v18, vcc_lo
	v_lshlrev_b32_e32 v18, 2, v18
	ds_bpermute_b32 v10, v18, v2
	ds_bpermute_b32 v11, v18, v3
	;; [unrolled: 1-line block ×7, first 2 shown]
	s_waitcnt lgkmcnt(7)
	v_add_f32_e32 v7, v7, v14
	ds_bpermute_b32 v14, v18, v7
	v_xor_b32_e32 v18, 4, v5
	s_delay_alu instid0(VALU_DEP_1)
	v_cmp_gt_i32_e32 vcc_lo, 32, v18
	s_waitcnt lgkmcnt(6)
	v_dual_add_f32 v2, v2, v10 :: v_dual_add_f32 v3, v3, v11
	s_waitcnt lgkmcnt(5)
	v_add_f32_e32 v4, v4, v12
	s_waitcnt lgkmcnt(4)
	v_add_f32_e32 v6, v6, v13
	v_cndmask_b32_e32 v18, v5, v18, vcc_lo
	s_waitcnt lgkmcnt(2)
	v_dual_add_f32 v8, v8, v15 :: v_dual_add_f32 v9, v9, v16
	s_waitcnt lgkmcnt(1)
	s_delay_alu instid0(VALU_DEP_2)
	v_dual_add_f32 v1, v1, v17 :: v_dual_lshlrev_b32 v18, 2, v18
	s_waitcnt lgkmcnt(0)
	v_add_f32_e32 v7, v7, v14
	ds_bpermute_b32 v10, v18, v2
	ds_bpermute_b32 v11, v18, v3
	;; [unrolled: 1-line block ×8, first 2 shown]
	v_xor_b32_e32 v18, 2, v5
	s_delay_alu instid0(VALU_DEP_1)
	v_cmp_gt_i32_e32 vcc_lo, 32, v18
	v_cndmask_b32_e32 v18, v5, v18, vcc_lo
	s_waitcnt lgkmcnt(6)
	v_dual_add_f32 v2, v2, v10 :: v_dual_add_f32 v3, v3, v11
	s_waitcnt lgkmcnt(5)
	v_add_f32_e32 v4, v4, v12
	v_lshlrev_b32_e32 v18, 2, v18
	s_waitcnt lgkmcnt(3)
	v_dual_add_f32 v6, v6, v13 :: v_dual_add_f32 v7, v7, v14
	s_waitcnt lgkmcnt(1)
	v_dual_add_f32 v8, v8, v15 :: v_dual_add_f32 v9, v9, v16
	s_waitcnt lgkmcnt(0)
	v_add_f32_e32 v1, v1, v17
	ds_bpermute_b32 v10, v18, v2
	ds_bpermute_b32 v11, v18, v3
	;; [unrolled: 1-line block ×8, first 2 shown]
	v_xor_b32_e32 v18, 1, v5
	s_delay_alu instid0(VALU_DEP_1)
	v_cmp_gt_i32_e32 vcc_lo, 32, v18
	v_cndmask_b32_e32 v18, v5, v18, vcc_lo
	s_waitcnt lgkmcnt(6)
	v_dual_add_f32 v10, v2, v10 :: v_dual_add_f32 v3, v3, v11
	s_waitcnt lgkmcnt(5)
	v_add_f32_e32 v4, v4, v12
	v_lshlrev_b32_e32 v18, 2, v18
	s_waitcnt lgkmcnt(3)
	v_dual_add_f32 v6, v6, v13 :: v_dual_add_f32 v7, v7, v14
	s_waitcnt lgkmcnt(1)
	v_dual_add_f32 v12, v8, v15 :: v_dual_add_f32 v13, v9, v16
	s_waitcnt lgkmcnt(0)
	v_add_f32_e32 v1, v1, v17
	ds_bpermute_b32 v8, v18, v10
	ds_bpermute_b32 v9, v18, v3
	;; [unrolled: 1-line block ×8, first 2 shown]
	v_and_b32_e32 v2, 31, v0
	s_waitcnt lgkmcnt(6)
	v_dual_add_f32 v11, v10, v8 :: v_dual_add_f32 v10, v3, v9
	s_waitcnt lgkmcnt(4)
	v_dual_add_f32 v9, v4, v14 :: v_dual_add_f32 v8, v6, v15
	;; [unrolled: 2-line block ×3, first 2 shown]
	s_waitcnt lgkmcnt(1)
	v_add_f32_e32 v4, v13, v19
	s_waitcnt lgkmcnt(0)
	v_add_f32_e32 v3, v1, v18
	v_cmpx_gt_u32_e32 8, v2
	s_cbranch_execz .LBB8_4
; %bb.3:
	v_cmp_eq_u32_e32 vcc_lo, 1, v2
	v_lshrrev_b32_e32 v12, 3, v0
	s_delay_alu instid0(VALU_DEP_1) | instskip(SKIP_1) | instid1(VALU_DEP_2)
	v_dual_cndmask_b32 v1, v11, v10 :: v_dual_and_b32 v12, 0x7c, v12
	v_cmp_eq_u32_e32 vcc_lo, 2, v2
	v_lshl_or_b32 v12, v2, 7, v12
	s_delay_alu instid0(VALU_DEP_3) | instskip(SKIP_1) | instid1(VALU_DEP_2)
	v_cndmask_b32_e32 v1, v1, v9, vcc_lo
	v_cmp_eq_u32_e32 vcc_lo, 3, v2
	v_cndmask_b32_e32 v1, v1, v8, vcc_lo
	v_cmp_eq_u32_e32 vcc_lo, 4, v2
	s_delay_alu instid0(VALU_DEP_2) | instskip(SKIP_1) | instid1(VALU_DEP_2)
	v_cndmask_b32_e32 v1, v1, v7, vcc_lo
	v_cmp_eq_u32_e32 vcc_lo, 5, v2
	v_cndmask_b32_e32 v1, v1, v6, vcc_lo
	v_cmp_eq_u32_e32 vcc_lo, 6, v2
	s_delay_alu instid0(VALU_DEP_2) | instskip(SKIP_1) | instid1(VALU_DEP_2)
	v_cndmask_b32_e32 v1, v1, v4, vcc_lo
	v_cmp_eq_u32_e32 vcc_lo, 7, v2
	v_cndmask_b32_e32 v1, v1, v3, vcc_lo
	ds_store_b32 v12, v1
.LBB8_4:
	s_or_b32 exec_lo, exec_lo, s1
	s_and_b32 s0, 0xffff, s0
	v_cvt_f32_u32_e32 v13, v0
	s_lshr_b32 s6, s0, 5
	s_waitcnt lgkmcnt(0)
	v_cvt_f32_u32_e32 v1, s6
	s_barrier
	buffer_gl0_inv
	s_mov_b32 s1, exec_lo
	v_rcp_iflag_f32_e32 v12, v1
	s_waitcnt_depctr 0xfff
	v_mul_f32_e32 v12, v13, v12
	s_delay_alu instid0(VALU_DEP_1) | instskip(NEXT) | instid1(VALU_DEP_1)
	v_trunc_f32_e32 v12, v12
	v_fma_f32 v13, -v12, v1, v13
	v_cvt_u32_f32_e32 v12, v12
	s_delay_alu instid0(VALU_DEP_2) | instskip(NEXT) | instid1(VALU_DEP_2)
	v_cmp_ge_f32_e64 vcc_lo, |v13|, v1
	v_add_co_ci_u32_e32 v1, vcc_lo, 0, v12, vcc_lo
	s_delay_alu instid0(VALU_DEP_1)
	v_cmpx_gt_u16_e32 8, v1
	s_cbranch_execz .LBB8_18
; %bb.5:
	v_mul_lo_u16 v12, v1, s6
	v_cmp_eq_u16_e32 vcc_lo, 7, v1
	s_cmp_lt_u32 s0, 64
	s_delay_alu instid0(VALU_DEP_2) | instskip(NEXT) | instid1(VALU_DEP_1)
	v_sub_nc_u16 v0, v0, v12
	v_and_b32_e32 v12, 0xffff, v0
	v_and_b32_e32 v0, 0xffff, v1
	s_delay_alu instid0(VALU_DEP_2) | instskip(NEXT) | instid1(VALU_DEP_1)
	v_lshlrev_b32_e32 v12, 2, v12
	v_lshl_add_u32 v12, v0, 7, v12
	ds_load_b32 v12, v12
	s_waitcnt lgkmcnt(0)
	v_cndmask_b32_e32 v3, v3, v12, vcc_lo
	v_cmp_eq_u16_e32 vcc_lo, 6, v1
	v_cndmask_b32_e32 v4, v4, v12, vcc_lo
	v_cmp_eq_u16_e32 vcc_lo, 5, v1
	;; [unrolled: 2-line block ×7, first 2 shown]
	v_cndmask_b32_e32 v11, v11, v12, vcc_lo
	s_cbranch_scc1 .LBB8_8
; %bb.6:
	s_lshr_b32 s7, s0, 6
.LBB8_7:                                ; =>This Inner Loop Header: Depth=1
	s_delay_alu instid0(SALU_CYCLE_1)
	v_xor_b32_e32 v13, s7, v5
	v_cmp_eq_u32_e32 vcc_lo, 1, v0
	v_cmp_eq_u32_e64 s0, 2, v0
	v_cmp_eq_u32_e64 s1, 3, v0
	;; [unrolled: 1-line block ×3, first 2 shown]
	v_cmp_gt_i32_e64 s4, 32, v13
	v_cmp_eq_u32_e64 s3, 5, v0
	v_cmp_eq_u32_e64 s5, 7, v0
	s_delay_alu instid0(VALU_DEP_3) | instskip(SKIP_2) | instid1(VALU_DEP_3)
	v_cndmask_b32_e64 v13, v5, v13, s4
	v_cndmask_b32_e32 v12, v11, v10, vcc_lo
	v_cmp_eq_u32_e64 s4, 6, v0
	v_lshlrev_b32_e32 v13, 2, v13
	s_delay_alu instid0(VALU_DEP_3) | instskip(NEXT) | instid1(VALU_DEP_1)
	v_cndmask_b32_e64 v12, v12, v9, s0
	v_cndmask_b32_e64 v12, v12, v8, s1
	s_delay_alu instid0(VALU_DEP_1) | instskip(NEXT) | instid1(VALU_DEP_1)
	v_cndmask_b32_e64 v12, v12, v7, s2
	v_cndmask_b32_e64 v12, v12, v6, s3
	s_delay_alu instid0(VALU_DEP_1) | instskip(NEXT) | instid1(VALU_DEP_1)
	v_cndmask_b32_e64 v12, v12, v4, s4
	v_cndmask_b32_e64 v12, v12, v3, s5
	ds_bpermute_b32 v13, v13, v12
	s_waitcnt lgkmcnt(0)
	v_add_f32_e32 v12, v12, v13
	s_delay_alu instid0(VALU_DEP_1)
	v_cndmask_b32_e32 v10, v10, v12, vcc_lo
	v_cmp_eq_u32_e32 vcc_lo, 0, v0
	v_cndmask_b32_e64 v3, v3, v12, s5
	v_cndmask_b32_e64 v4, v4, v12, s4
	;; [unrolled: 1-line block ×6, first 2 shown]
	v_cndmask_b32_e32 v11, v11, v12, vcc_lo
	s_lshr_b32 s0, s7, 1
	s_cmp_lt_u32 s7, 2
	s_mov_b32 s7, s0
	s_cbranch_scc0 .LBB8_7
.LBB8_8:
	s_lshl_b32 s0, s6, 1
	v_cmp_eq_u32_e32 vcc_lo, 1, v0
	v_cvt_f32_u32_e32 v12, s0
	v_cndmask_b32_e32 v10, v11, v10, vcc_lo
	s_delay_alu instid0(VALU_DEP_2) | instskip(SKIP_1) | instid1(VALU_DEP_2)
	v_rcp_iflag_f32_e32 v11, v12
	v_cmp_eq_u32_e32 vcc_lo, 2, v0
	v_cndmask_b32_e32 v9, v10, v9, vcc_lo
	v_cvt_f32_ubyte0_e32 v10, v2
	v_cmp_eq_u32_e32 vcc_lo, 3, v0
	s_waitcnt_depctr 0xfff
	v_dual_cndmask_b32 v8, v9, v8 :: v_dual_mul_f32 v9, v10, v11
	v_cmp_eq_u32_e32 vcc_lo, 4, v0
	s_delay_alu instid0(VALU_DEP_2) | instskip(NEXT) | instid1(VALU_DEP_3)
	v_cndmask_b32_e32 v7, v8, v7, vcc_lo
	v_trunc_f32_e32 v8, v9
	v_xor_b32_e32 v9, s6, v5
	v_cmp_eq_u32_e32 vcc_lo, 5, v0
	s_delay_alu instid0(VALU_DEP_4) | instskip(NEXT) | instid1(VALU_DEP_3)
	v_cndmask_b32_e32 v6, v7, v6, vcc_lo
	v_cmp_gt_i32_e32 vcc_lo, 32, v9
	v_fma_f32 v7, -v8, v12, v10
	v_cvt_u32_f32_e32 v8, v8
	v_cndmask_b32_e32 v5, v5, v9, vcc_lo
	v_cmp_eq_u32_e32 vcc_lo, 6, v0
	v_cndmask_b32_e32 v4, v6, v4, vcc_lo
	v_cmp_ge_f32_e64 vcc_lo, |v7|, v12
	v_add_co_ci_u32_e32 v6, vcc_lo, 0, v8, vcc_lo
	v_cmp_eq_u32_e32 vcc_lo, 7, v0
	v_lshlrev_b32_e32 v0, 2, v5
	s_delay_alu instid0(VALU_DEP_3) | instskip(SKIP_3) | instid1(VALU_DEP_1)
	v_mul_lo_u32 v5, v6, s0
	v_cndmask_b32_e32 v4, v4, v3, vcc_lo
	ds_bpermute_b32 v3, v0, v4
	v_sub_nc_u32_e32 v0, v2, v5
	v_and_b32_e32 v0, 0xfff, v0
	s_delay_alu instid0(VALU_DEP_1)
	v_cmp_eq_u32_e32 vcc_lo, 0, v0
	s_and_b32 exec_lo, exec_lo, vcc_lo
	s_cbranch_execz .LBB8_18
; %bb.9:
	v_and_b32_e32 v0, 0x7f800000, v4
	s_delay_alu instid0(VALU_DEP_1) | instskip(SKIP_1) | instid1(SALU_CYCLE_1)
	v_cmp_ne_u32_e32 vcc_lo, 0x7f800000, v0
                                        ; implicit-def: $vgpr0
	s_and_saveexec_b32 s0, vcc_lo
	s_xor_b32 s0, exec_lo, s0
; %bb.10:
	v_bfe_u32 v0, v4, 16, 1
	s_delay_alu instid0(VALU_DEP_1)
	v_add3_u32 v0, v4, v0, 0x7fff
                                        ; implicit-def: $vgpr4
; %bb.11:
	s_and_not1_saveexec_b32 s0, s0
; %bb.12:
	v_and_b32_e32 v0, 0xffff, v4
	v_or_b32_e32 v2, 0x10000, v4
	s_delay_alu instid0(VALU_DEP_2) | instskip(NEXT) | instid1(VALU_DEP_2)
	v_cmp_eq_u32_e32 vcc_lo, 0, v0
	v_cndmask_b32_e32 v0, v2, v4, vcc_lo
; %bb.13:
	s_or_b32 exec_lo, exec_lo, s0
	s_waitcnt lgkmcnt(0)
	v_and_b32_e32 v2, 0x7f800000, v3
	s_delay_alu instid0(VALU_DEP_1) | instskip(SKIP_1) | instid1(SALU_CYCLE_1)
	v_cmp_ne_u32_e32 vcc_lo, 0x7f800000, v2
                                        ; implicit-def: $vgpr2
	s_and_saveexec_b32 s0, vcc_lo
	s_xor_b32 s0, exec_lo, s0
; %bb.14:
	v_bfe_u32 v2, v3, 16, 1
	s_delay_alu instid0(VALU_DEP_1)
	v_add3_u32 v2, v3, v2, 0x7fff
                                        ; implicit-def: $vgpr3
; %bb.15:
	s_and_not1_saveexec_b32 s0, s0
; %bb.16:
	v_and_b32_e32 v2, 0xffff, v3
	v_or_b32_e32 v4, 0x10000, v3
	s_delay_alu instid0(VALU_DEP_2) | instskip(NEXT) | instid1(VALU_DEP_2)
	v_cmp_eq_u32_e32 vcc_lo, 0, v2
	v_cndmask_b32_e32 v2, v4, v3, vcc_lo
; %bb.17:
	s_or_b32 exec_lo, exec_lo, s0
	v_lshrrev_b16 v1, 1, v1
	s_lshl_b32 s0, s15, 2
	s_delay_alu instid0(VALU_DEP_2) | instskip(NEXT) | instid1(VALU_DEP_2)
	v_perm_b32 v0, v2, v0, 0x7060302
	v_dual_mov_b32 v4, 0 :: v_dual_and_b32 v1, 0xffff, v1
	s_delay_alu instid0(VALU_DEP_1) | instskip(NEXT) | instid1(VALU_DEP_1)
	v_and_or_b32 v3, 0x7ffffffc, s0, v1
	v_lshlrev_b64 v[3:4], 2, v[3:4]
	s_delay_alu instid0(VALU_DEP_1) | instskip(NEXT) | instid1(VALU_DEP_2)
	v_add_co_u32 v3, vcc_lo, s8, v3
	v_add_co_ci_u32_e32 v4, vcc_lo, s9, v4, vcc_lo
	global_store_b32 v[3:4], v0, off
.LBB8_18:
	s_nop 0
	s_sendmsg sendmsg(MSG_DEALLOC_VGPRS)
	s_endpgm
	.section	.rodata,"a",@progbits
	.p2align	6, 0x0
	.amdhsa_kernel _ZN5aiter14LLGemm1_kernelI12hip_bfloat16Li8EEEvPKT_S4_PS2_i
		.amdhsa_group_segment_fixed_size 1024
		.amdhsa_private_segment_fixed_size 0
		.amdhsa_kernarg_size 288
		.amdhsa_user_sgpr_count 15
		.amdhsa_user_sgpr_dispatch_ptr 0
		.amdhsa_user_sgpr_queue_ptr 0
		.amdhsa_user_sgpr_kernarg_segment_ptr 1
		.amdhsa_user_sgpr_dispatch_id 0
		.amdhsa_user_sgpr_private_segment_size 0
		.amdhsa_wavefront_size32 1
		.amdhsa_uses_dynamic_stack 0
		.amdhsa_enable_private_segment 0
		.amdhsa_system_sgpr_workgroup_id_x 1
		.amdhsa_system_sgpr_workgroup_id_y 0
		.amdhsa_system_sgpr_workgroup_id_z 0
		.amdhsa_system_sgpr_workgroup_info 0
		.amdhsa_system_vgpr_workitem_id 0
		.amdhsa_next_free_vgpr 75
		.amdhsa_next_free_sgpr 16
		.amdhsa_reserve_vcc 1
		.amdhsa_float_round_mode_32 0
		.amdhsa_float_round_mode_16_64 0
		.amdhsa_float_denorm_mode_32 3
		.amdhsa_float_denorm_mode_16_64 3
		.amdhsa_dx10_clamp 1
		.amdhsa_ieee_mode 1
		.amdhsa_fp16_overflow 0
		.amdhsa_workgroup_processor_mode 1
		.amdhsa_memory_ordered 1
		.amdhsa_forward_progress 0
		.amdhsa_shared_vgpr_count 0
		.amdhsa_exception_fp_ieee_invalid_op 0
		.amdhsa_exception_fp_denorm_src 0
		.amdhsa_exception_fp_ieee_div_zero 0
		.amdhsa_exception_fp_ieee_overflow 0
		.amdhsa_exception_fp_ieee_underflow 0
		.amdhsa_exception_fp_ieee_inexact 0
		.amdhsa_exception_int_div_zero 0
	.end_amdhsa_kernel
	.section	.text._ZN5aiter14LLGemm1_kernelI12hip_bfloat16Li8EEEvPKT_S4_PS2_i,"axG",@progbits,_ZN5aiter14LLGemm1_kernelI12hip_bfloat16Li8EEEvPKT_S4_PS2_i,comdat
.Lfunc_end8:
	.size	_ZN5aiter14LLGemm1_kernelI12hip_bfloat16Li8EEEvPKT_S4_PS2_i, .Lfunc_end8-_ZN5aiter14LLGemm1_kernelI12hip_bfloat16Li8EEEvPKT_S4_PS2_i
                                        ; -- End function
	.section	.AMDGPU.csdata,"",@progbits
; Kernel info:
; codeLenInByte = 3044
; NumSgprs: 18
; NumVgprs: 75
; ScratchSize: 0
; MemoryBound: 0
; FloatMode: 240
; IeeeMode: 1
; LDSByteSize: 1024 bytes/workgroup (compile time only)
; SGPRBlocks: 2
; VGPRBlocks: 9
; NumSGPRsForWavesPerEU: 18
; NumVGPRsForWavesPerEU: 75
; Occupancy: 16
; WaveLimiterHint : 0
; COMPUTE_PGM_RSRC2:SCRATCH_EN: 0
; COMPUTE_PGM_RSRC2:USER_SGPR: 15
; COMPUTE_PGM_RSRC2:TRAP_HANDLER: 0
; COMPUTE_PGM_RSRC2:TGID_X_EN: 1
; COMPUTE_PGM_RSRC2:TGID_Y_EN: 0
; COMPUTE_PGM_RSRC2:TGID_Z_EN: 0
; COMPUTE_PGM_RSRC2:TIDIG_COMP_CNT: 0
	.section	.text._ZN5aiter14LLGemm1_kernelI12hip_bfloat16Li16EEEvPKT_S4_PS2_i,"axG",@progbits,_ZN5aiter14LLGemm1_kernelI12hip_bfloat16Li16EEEvPKT_S4_PS2_i,comdat
	.protected	_ZN5aiter14LLGemm1_kernelI12hip_bfloat16Li16EEEvPKT_S4_PS2_i ; -- Begin function _ZN5aiter14LLGemm1_kernelI12hip_bfloat16Li16EEEvPKT_S4_PS2_i
	.globl	_ZN5aiter14LLGemm1_kernelI12hip_bfloat16Li16EEEvPKT_S4_PS2_i
	.p2align	8
	.type	_ZN5aiter14LLGemm1_kernelI12hip_bfloat16Li16EEEvPKT_S4_PS2_i,@function
_ZN5aiter14LLGemm1_kernelI12hip_bfloat16Li16EEEvPKT_S4_PS2_i: ; @_ZN5aiter14LLGemm1_kernelI12hip_bfloat16Li16EEEvPKT_S4_PS2_i
; %bb.0:
	s_clause 0x2
	s_load_b32 s10, s[0:1], 0x18
	s_load_b128 s[4:7], s[0:1], 0x0
	s_load_b64 s[16:17], s[0:1], 0x10
	v_lshlrev_b32_e32 v1, 3, v0
                                        ; implicit-def: $vgpr25
                                        ; implicit-def: $vgpr37
                                        ; implicit-def: $vgpr45
                                        ; implicit-def: $vgpr53
                                        ; implicit-def: $vgpr57
                                        ; implicit-def: $vgpr61
                                        ; implicit-def: $vgpr21
                                        ; implicit-def: $vgpr33
                                        ; implicit-def: $vgpr41
                                        ; implicit-def: $vgpr49
                                        ; implicit-def: $vgpr5
                                        ; implicit-def: $vgpr13
                                        ; implicit-def: $vgpr9
                                        ; implicit-def: $vgpr17
                                        ; implicit-def: $vgpr29
	s_waitcnt lgkmcnt(0)
	s_delay_alu instid0(VALU_DEP_1)
	v_cmp_gt_i32_e32 vcc_lo, s10, v1
                                        ; implicit-def: $vgpr1
	s_and_saveexec_b32 s3, vcc_lo
	s_cbranch_execz .LBB9_2
; %bb.1:
	s_mul_i32 s2, s15, s10
	s_lshr_b32 s8, s10, 3
	s_lshl_b32 s2, s2, 1
	s_mov_b32 s9, 0
	s_and_b32 s2, s2, 0x1ffffffe
	s_delay_alu instid0(SALU_CYCLE_1) | instskip(SKIP_1) | instid1(VALU_DEP_1)
	v_dual_mov_b32 v26, 0 :: v_dual_add_nc_u32 v25, s2, v0
	s_lshl_b64 s[12:13], s[8:9], 4
	v_add3_u32 v1, s8, s8, v25
	s_delay_alu instid0(VALU_DEP_2) | instskip(NEXT) | instid1(VALU_DEP_2)
	v_lshlrev_b64 v[3:4], 4, v[25:26]
	v_dual_mov_b32 v2, v26 :: v_dual_add_nc_u32 v5, s8, v1
	v_mov_b32_e32 v6, v26
	s_delay_alu instid0(VALU_DEP_2) | instskip(NEXT) | instid1(VALU_DEP_4)
	v_lshlrev_b64 v[7:8], 4, v[1:2]
	v_add_co_u32 v1, s2, s4, v3
	s_delay_alu instid0(VALU_DEP_4) | instskip(SKIP_3) | instid1(VALU_DEP_4)
	v_add_nc_u32_e32 v11, s8, v5
	v_add_co_ci_u32_e64 v2, s2, s5, v4, s2
	v_mov_b32_e32 v12, v26
	v_lshlrev_b64 v[3:4], 4, v[5:6]
	v_add_nc_u32_e32 v15, s8, v11
	v_add_co_u32 v9, s2, v1, s12
	s_delay_alu instid0(VALU_DEP_1)
	v_add_co_ci_u32_e64 v10, s2, s13, v2, s2
	v_add_co_u32 v6, s2, s4, v7
	v_lshlrev_b64 v[13:14], 4, v[11:12]
	v_add_co_ci_u32_e64 v7, s2, s5, v8, s2
	v_mov_b32_e32 v16, v26
	v_add_co_u32 v3, s2, s4, v3
	s_delay_alu instid0(VALU_DEP_1)
	v_add_co_ci_u32_e64 v4, s2, s5, v4, s2
	s_clause 0x3
	global_load_b128 v[29:32], v[1:2], off slc dlc
	global_load_b128 v[17:20], v[9:10], off slc dlc
	;; [unrolled: 1-line block ×4, first 2 shown]
	v_add_co_u32 v7, s2, s4, v13
	v_add_nc_u32_e32 v13, s8, v15
	v_lshlrev_b64 v[5:6], 4, v[15:16]
	v_add_co_ci_u32_e64 v8, s2, s5, v14, s2
	s_delay_alu instid0(VALU_DEP_3) | instskip(NEXT) | instid1(VALU_DEP_3)
	v_dual_mov_b32 v14, v26 :: v_dual_add_nc_u32 v21, s8, v13
	v_add_co_u32 v5, s2, s4, v5
	s_delay_alu instid0(VALU_DEP_1) | instskip(SKIP_1) | instid1(SALU_CYCLE_1)
	v_add_co_ci_u32_e64 v6, s2, s5, v6, s2
	s_and_b32 s2, s10, -8
	v_dual_mov_b32 v22, v26 :: v_dual_add_nc_u32 v25, s2, v25
	v_lshlrev_b64 v[23:24], 4, v[13:14]
	s_clause 0x1
	global_load_b128 v[13:16], v[7:8], off slc dlc
	global_load_b128 v[5:8], v[5:6], off slc dlc
	v_lshlrev_b64 v[27:28], 4, v[21:22]
	v_lshlrev_b64 v[33:34], 4, v[25:26]
	v_lshl_add_u32 v25, s8, 1, v21
	v_add_co_u32 v22, s2, s4, v23
	s_delay_alu instid0(VALU_DEP_1) | instskip(SKIP_1) | instid1(VALU_DEP_4)
	v_add_co_ci_u32_e64 v23, s2, s5, v24, s2
	v_add_co_u32 v27, s2, s4, v27
	v_lshlrev_b64 v[35:36], 4, v[25:26]
	v_add_nc_u32_e32 v25, s8, v25
	v_add_co_ci_u32_e64 v28, s2, s5, v28, s2
	v_add_co_u32 v33, s2, s4, v33
	s_delay_alu instid0(VALU_DEP_1) | instskip(NEXT) | instid1(VALU_DEP_4)
	v_add_co_ci_u32_e64 v34, s2, s5, v34, s2
	v_lshlrev_b64 v[39:40], 4, v[25:26]
	v_add_nc_u32_e32 v25, s8, v25
	v_add_co_u32 v37, s2, s4, v35
	s_delay_alu instid0(VALU_DEP_1)
	v_add_co_ci_u32_e64 v38, s2, s5, v36, s2
	s_clause 0x3
	global_load_b128 v[49:52], v[22:23], off slc dlc
	global_load_b128 v[41:44], v[27:28], off slc dlc
	;; [unrolled: 1-line block ×4, first 2 shown]
	v_lshlrev_b64 v[27:28], 4, v[25:26]
	v_add_nc_u32_e32 v25, s8, v25
	v_add_co_u32 v37, s2, s4, v39
	s_delay_alu instid0(VALU_DEP_1) | instskip(NEXT) | instid1(VALU_DEP_3)
	v_add_co_ci_u32_e64 v38, s2, s5, v40, s2
	v_lshlrev_b64 v[39:40], 4, v[25:26]
	v_add_nc_u32_e32 v25, s8, v25
	v_add_co_u32 v27, s2, s4, v27
	s_delay_alu instid0(VALU_DEP_1) | instskip(NEXT) | instid1(VALU_DEP_3)
	v_add_co_ci_u32_e64 v28, s2, s5, v28, s2
	;; [unrolled: 5-line block ×4, first 2 shown]
	v_lshlrev_b64 v[25:26], 4, v[25:26]
	v_add_co_u32 v65, s2, s4, v47
	s_delay_alu instid0(VALU_DEP_1) | instskip(NEXT) | instid1(VALU_DEP_3)
	v_add_co_ci_u32_e64 v66, s2, s5, v48, s2
	v_add_co_u32 v25, s2, s4, v25
	s_delay_alu instid0(VALU_DEP_1)
	v_add_co_ci_u32_e64 v26, s2, s5, v26, s2
	s_clause 0x5
	global_load_b128 v[61:64], v[37:38], off slc dlc
	global_load_b128 v[57:60], v[27:28], off slc dlc
	;; [unrolled: 1-line block ×6, first 2 shown]
.LBB9_2:
	s_or_b32 exec_lo, exec_lo, s3
	s_waitcnt vmcnt(5)
	v_lshlrev_b32_e32 v123, 16, v61
	v_lshlrev_b32_e32 v114, 16, v17
	;; [unrolled: 1-line block ×3, first 2 shown]
	s_waitcnt vmcnt(4)
	v_lshlrev_b32_e32 v124, 16, v57
	s_waitcnt vmcnt(0)
	v_lshlrev_b32_e32 v134, 16, v25
	v_lshlrev_b32_e32 v104, 16, v58
	;; [unrolled: 1-line block ×3, first 2 shown]
	global_load_b128 v[109:112], v65, s[6:7]
	v_and_b32_e32 v135, 0xffff0000, v25
	v_lshlrev_b32_e32 v136, 16, v26
	v_and_b32_e32 v137, 0xffff0000, v26
	v_lshlrev_b32_e32 v25, 16, v28
	;; [unrolled: 2-line block ×3, first 2 shown]
	v_lshlrev_b32_e32 v107, 16, v54
	v_lshlrev_b32_e32 v130, 16, v46
	;; [unrolled: 1-line block ×3, first 2 shown]
	v_and_b32_e32 v127, 0xffff0000, v53
	v_and_b32_e32 v129, 0xffff0000, v45
	v_lshlrev_b32_e32 v45, 16, v48
	v_and_b32_e32 v132, 0xffff0000, v37
	v_and_b32_e32 v106, 0xffff0000, v38
	s_load_b32 s0, s[0:1], 0x2c
	s_mov_b32 s1, exec_lo
	s_waitcnt vmcnt(0)
	v_lshlrev_b32_e32 v139, 16, v109
	v_and_b32_e32 v83, 0xffff0000, v17
	v_and_b32_e32 v17, 0xffff0000, v20
	;; [unrolled: 1-line block ×3, first 2 shown]
	v_lshlrev_b32_e32 v138, 16, v110
	v_mul_f32_e32 v124, v139, v124
	v_mul_f32_e32 v134, v139, v134
	v_dual_mul_f32 v128, v139, v128 :: v_dual_lshlrev_b32 v77, 16, v18
	s_delay_alu instid0(VALU_DEP_3) | instskip(SKIP_1) | instid1(VALU_DEP_3)
	v_dual_fmac_f32 v124, v104, v138 :: v_dual_lshlrev_b32 v75, 16, v7
	v_lshlrev_b32_e32 v119, 16, v49
	v_dual_fmac_f32 v128, v130, v138 :: v_dual_and_b32 v99, 0xffff0000, v49
	v_dual_fmac_f32 v134, v136, v138 :: v_dual_and_b32 v49, 0xffff0000, v51
	v_and_b32_e32 v110, 0xffff0000, v110
	v_and_b32_e32 v108, 0xffff0000, v61
	;; [unrolled: 1-line block ×4, first 2 shown]
	v_lshlrev_b32_e32 v62, 16, v63
	v_and_b32_e32 v63, 0xffff0000, v58
	v_lshlrev_b32_e32 v58, 16, v59
	v_and_b32_e32 v103, 0xffff0000, v33
	v_and_b32_e32 v109, 0xffff0000, v109
	;; [unrolled: 1-line block ×3, first 2 shown]
	v_lshlrev_b32_e32 v116, 16, v1
	v_and_b32_e32 v73, 0xffff0000, v10
	v_lshlrev_b32_e32 v131, 16, v37
	v_mul_f32_e32 v103, v109, v103
	s_delay_alu instid0(VALU_DEP_4) | instskip(SKIP_2) | instid1(VALU_DEP_3)
	v_dual_mul_f32 v116, v139, v116 :: v_dual_lshlrev_b32 v113, 16, v29
	v_dual_mul_f32 v83, v109, v83 :: v_dual_lshlrev_b32 v74, 16, v30
	;; [unrolled: 1-line block ×3, first 2 shown]
	v_dual_mul_f32 v113, v139, v113 :: v_dual_mul_f32 v108, v109, v108
	v_and_b32_e32 v101, 0xffff0000, v41
	v_lshlrev_b32_e32 v72, 16, v15
	s_delay_alu instid0(VALU_DEP_4) | instskip(NEXT) | instid1(VALU_DEP_4)
	v_fmac_f32_e32 v86, v73, v110
	v_fmac_f32_e32 v113, v74, v138
	s_delay_alu instid0(VALU_DEP_4)
	v_dual_mul_f32 v101, v109, v101 :: v_dual_lshlrev_b32 v82, 16, v2
	v_and_b32_e32 v88, 0xffff0000, v42
	v_lshlrev_b32_e32 v120, 16, v41
	v_and_b32_e32 v42, 0xffff0000, v48
	v_lshlrev_b32_e32 v48, 16, v111
	v_lshlrev_b32_e32 v92, 16, v50
	v_lshlrev_b32_e32 v118, 16, v5
	v_lshlrev_b32_e32 v65, 16, v31
	v_fmac_f32_e32 v101, v88, v110
	v_dual_mul_f32 v120, v139, v120 :: v_dual_and_b32 v31, 0xffff0000, v31
	v_dual_mul_f32 v115, v139, v115 :: v_dual_and_b32 v80, 0xffff0000, v29
	v_and_b32_e32 v71, 0xffff0000, v18
	v_dual_mul_f32 v131, v139, v131 :: v_dual_lshlrev_b32 v18, 16, v20
	v_dual_mul_f32 v127, v109, v127 :: v_dual_and_b32 v90, 0xffff0000, v1
	v_lshlrev_b32_e32 v67, 16, v11
	v_dual_mul_f32 v132, v109, v132 :: v_dual_lshlrev_b32 v69, 16, v3
	v_dual_fmac_f32 v120, v95, v138 :: v_dual_and_b32 v93, 0xffff0000, v13
	v_and_b32_e32 v20, 0xffff0000, v11
	v_dual_fmac_f32 v116, v82, v138 :: v_dual_lshlrev_b32 v11, 16, v4
	v_lshlrev_b32_e32 v89, 16, v6
	v_lshlrev_b32_e32 v133, 16, v38
	v_mul_f32_e32 v118, v139, v118
	v_lshlrev_b32_e32 v38, 16, v40
	v_and_b32_e32 v37, 0xffff0000, v40
	v_lshlrev_b32_e32 v40, 16, v27
	v_and_b32_e32 v125, 0xffff0000, v57
	v_and_b32_e32 v57, 0xffff0000, v59
	v_lshlrev_b32_e32 v59, 16, v39
	v_mul_f32_e32 v123, v139, v123
	v_fmac_f32_e32 v131, v133, v138
	v_dual_fmac_f32 v116, v69, v48 :: v_dual_lshlrev_b32 v117, 16, v13
	v_fmac_f32_e32 v118, v89, v138
	v_and_b32_e32 v81, 0xffff0000, v6
	v_lshlrev_b32_e32 v6, 16, v8
	v_and_b32_e32 v105, 0xffff0000, v21
	v_dual_fmac_f32 v131, v59, v48 :: v_dual_and_b32 v70, 0xffff0000, v7
	v_fmac_f32_e32 v123, v102, v138
	s_delay_alu instid0(VALU_DEP_3) | instskip(SKIP_1) | instid1(VALU_DEP_3)
	v_dual_mul_f32 v105, v109, v105 :: v_dual_and_b32 v76, 0xffff0000, v2
	v_and_b32_e32 v94, 0xffff0000, v22
	v_dual_fmac_f32 v123, v62, v48 :: v_dual_lshlrev_b32 v100, 16, v22
	v_lshlrev_b32_e32 v122, 16, v21
	s_delay_alu instid0(VALU_DEP_3) | instskip(SKIP_1) | instid1(VALU_DEP_3)
	v_dual_fmac_f32 v105, v94, v110 :: v_dual_lshlrev_b32 v126, 16, v53
	v_and_b32_e32 v29, 0xffff0000, v32
	v_dual_mul_f32 v93, v109, v93 :: v_dual_mul_f32 v122, v139, v122
	v_dual_fmac_f32 v134, v40, v48 :: v_dual_lshlrev_b32 v87, 16, v23
	v_dual_mul_f32 v125, v109, v125 :: v_dual_and_b32 v66, 0xffff0000, v3
	s_delay_alu instid0(VALU_DEP_3) | instskip(SKIP_2) | instid1(VALU_DEP_3)
	v_dual_fmac_f32 v122, v100, v138 :: v_dual_and_b32 v3, 0xffff0000, v16
	v_dual_mul_f32 v117, v139, v117 :: v_dual_and_b32 v68, 0xffff0000, v30
	v_lshlrev_b32_e32 v30, 16, v32
	v_dual_fmac_f32 v122, v87, v48 :: v_dual_lshlrev_b32 v121, 16, v33
	v_lshlrev_b32_e32 v32, 16, v19
	v_dual_mul_f32 v126, v139, v126 :: v_dual_and_b32 v19, 0xffff0000, v19
	v_mul_f32_e32 v114, v139, v114
	s_delay_alu instid0(VALU_DEP_4) | instskip(SKIP_1) | instid1(VALU_DEP_4)
	v_mul_f32_e32 v121, v139, v121
	v_fmac_f32_e32 v113, v65, v48
	v_dual_fmac_f32 v126, v107, v138 :: v_dual_and_b32 v9, 0xffff0000, v12
	s_delay_alu instid0(VALU_DEP_4) | instskip(SKIP_3) | instid1(VALU_DEP_4)
	v_dual_fmac_f32 v114, v77, v138 :: v_dual_mul_f32 v119, v139, v119
	v_lshlrev_b32_e32 v85, 16, v14
	v_dual_mul_f32 v129, v109, v129 :: v_dual_and_b32 v2, 0xffff0000, v4
	v_and_b32_e32 v78, 0xffff0000, v14
	v_fmac_f32_e32 v119, v92, v138
	v_lshlrev_b32_e32 v98, 16, v34
	v_and_b32_e32 v96, 0xffff0000, v5
	v_mul_f32_e32 v80, v109, v80
	v_mul_f32_e32 v90, v109, v90
	;; [unrolled: 1-line block ×3, first 2 shown]
	v_fmac_f32_e32 v121, v98, v138
	v_dual_mul_f32 v96, v109, v96 :: v_dual_lshlrev_b32 v79, 16, v10
	v_lshlrev_b32_e32 v10, 16, v12
	v_and_b32_e32 v14, 0xffff0000, v15
	v_mul_f32_e32 v109, v109, v135
	s_delay_alu instid0(VALU_DEP_4)
	v_fmac_f32_e32 v115, v79, v138
	v_and_b32_e32 v84, 0xffff0000, v50
	v_dual_fmac_f32 v93, v78, v110 :: v_dual_lshlrev_b32 v50, 16, v51
	v_fmac_f32_e32 v114, v32, v48
	v_dual_fmac_f32 v117, v85, v138 :: v_dual_lshlrev_b32 v12, 16, v16
	v_and_b32_e32 v4, 0xffff0000, v8
	v_dual_fmac_f32 v90, v76, v110 :: v_dual_lshlrev_b32 v51, 16, v43
	v_lshlrev_b32_e32 v15, 16, v44
	v_and_b32_e32 v7, 0xffff0000, v44
	v_lshlrev_b32_e32 v33, 16, v36
	v_and_b32_e32 v13, 0xffff0000, v36
	v_lshlrev_b32_e32 v22, 16, v24
	v_fmac_f32_e32 v115, v67, v48
	v_dual_fmac_f32 v99, v84, v110 :: v_dual_lshlrev_b32 v8, 16, v52
	v_lshlrev_b32_e32 v36, 16, v60
	v_fmac_f32_e32 v117, v72, v48
	v_lshlrev_b32_e32 v44, 16, v56
	v_dual_fmac_f32 v118, v75, v48 :: v_dual_and_b32 v41, 0xffff0000, v43
	v_and_b32_e32 v43, 0xffff0000, v23
	v_and_b32_e32 v23, 0xffff0000, v60
	;; [unrolled: 1-line block ×3, first 2 shown]
	v_lshlrev_b32_e32 v54, 16, v55
	v_and_b32_e32 v91, 0xffff0000, v34
	v_fmac_f32_e32 v119, v50, v48
	v_and_b32_e32 v34, 0xffff0000, v56
	v_and_b32_e32 v56, 0xffff0000, v111
	;; [unrolled: 1-line block ×4, first 2 shown]
	v_fmac_f32_e32 v109, v137, v110
	v_mbcnt_lo_u32_b32 v1, -1, 0
	v_fmac_f32_e32 v90, v66, v56
	v_dual_fmac_f32 v86, v20, v56 :: v_dual_and_b32 v53, 0xffff0000, v55
	v_lshlrev_b32_e32 v55, 16, v47
	v_fmac_f32_e32 v105, v43, v56
	s_delay_alu instid0(VALU_DEP_4)
	v_fmac_f32_e32 v90, v2, v28
	v_fmac_f32_e32 v126, v54, v48
	v_dual_fmac_f32 v103, v91, v110 :: v_dual_lshlrev_b32 v52, 16, v35
	v_dual_fmac_f32 v128, v55, v48 :: v_dual_and_b32 v35, 0xffff0000, v35
	v_xor_b32_e32 v111, 16, v1
	v_fmac_f32_e32 v86, v9, v28
	v_xor_b32_e32 v139, 4, v1
	s_delay_alu instid0(VALU_DEP_4)
	v_fmac_f32_e32 v103, v35, v56
	v_and_b32_e32 v16, 0xffff0000, v24
	v_lshlrev_b32_e32 v24, 16, v64
	v_and_b32_e32 v64, 0xffff0000, v46
	v_and_b32_e32 v46, 0xffff0000, v47
	;; [unrolled: 1-line block ×3, first 2 shown]
	v_lshlrev_b32_e32 v27, 16, v112
	v_cmp_gt_i32_e64 s2, 32, v111
	v_xor_b32_e32 v112, 8, v1
	s_delay_alu instid0(VALU_DEP_3) | instskip(SKIP_4) | instid1(VALU_DEP_4)
	v_dual_fmac_f32 v116, v11, v27 :: v_dual_fmac_f32 v103, v13, v28
	v_dual_fmac_f32 v80, v68, v110 :: v_dual_fmac_f32 v113, v30, v27
	v_fmac_f32_e32 v127, v60, v110
	v_fmac_f32_e32 v105, v16, v28
	;; [unrolled: 1-line block ×7, first 2 shown]
	v_cndmask_b32_e64 v111, v1, v111, s2
	v_dual_fmac_f32 v80, v29, v28 :: v_dual_and_b32 v39, 0xffff0000, v39
	v_fmac_f32_e32 v121, v52, v48
	v_fmac_f32_e32 v129, v64, v110
	v_cmp_gt_i32_e64 s2, 32, v112
	s_delay_alu instid0(VALU_DEP_4) | instskip(NEXT) | instid1(VALU_DEP_2)
	v_add_f32_e32 v2, v113, v80
	v_cndmask_b32_e64 v112, v1, v112, s2
	s_delay_alu instid0(VALU_DEP_2)
	v_cndmask_b32_e32 v2, 0, v2, vcc_lo
	v_fmac_f32_e32 v120, v15, v27
	v_dual_fmac_f32 v125, v63, v110 :: v_dual_fmac_f32 v122, v22, v27
	v_fmac_f32_e32 v114, v18, v27
	v_fmac_f32_e32 v115, v10, v27
	;; [unrolled: 1-line block ×3, first 2 shown]
	s_delay_alu instid0(VALU_DEP_4) | instskip(SKIP_3) | instid1(VALU_DEP_4)
	v_dual_fmac_f32 v125, v57, v56 :: v_dual_fmac_f32 v118, v6, v27
	v_fmac_f32_e32 v121, v33, v27
	v_fmac_f32_e32 v123, v24, v27
	;; [unrolled: 1-line block ×12, first 2 shown]
	v_dual_fmac_f32 v127, v53, v56 :: v_dual_fmac_f32 v126, v44, v27
	s_delay_alu instid0(VALU_DEP_4)
	v_add_f32_e32 v3, v114, v83
	v_fmac_f32_e32 v131, v38, v27
	v_dual_fmac_f32 v132, v106, v110 :: v_dual_fmac_f32 v101, v7, v28
	v_fmac_f32_e32 v124, v36, v27
	v_add_f32_e32 v6, v117, v93
	v_add_f32_e32 v10, v121, v103
	s_delay_alu instid0(VALU_DEP_4)
	v_dual_fmac_f32 v132, v39, v56 :: v_dual_add_f32 v9, v120, v101
	v_fmac_f32_e32 v96, v4, v28
	v_dual_add_f32 v4, v115, v86 :: v_dual_lshlrev_b32 v111, 2, v111
	v_fmac_f32_e32 v108, v61, v56
	v_fmac_f32_e32 v99, v5, v28
	v_dual_fmac_f32 v127, v34, v28 :: v_dual_cndmask_b32 v6, 0, v6
	s_delay_alu instid0(VALU_DEP_4)
	v_cndmask_b32_e32 v4, 0, v4, vcc_lo
	ds_bpermute_b32 v18, v111, v2
	v_fmac_f32_e32 v108, v21, v28
	v_dual_fmac_f32 v134, v25, v27 :: v_dual_add_f32 v5, v116, v90
	v_add_f32_e32 v8, v119, v99
	v_add_f32_e32 v14, v126, v127
	s_delay_alu instid0(VALU_DEP_4) | instskip(SKIP_3) | instid1(VALU_DEP_4)
	v_add_f32_e32 v12, v123, v108
	v_fmac_f32_e32 v109, v47, v56
	v_fmac_f32_e32 v129, v46, v56
	v_dual_add_f32 v13, v124, v125 :: v_dual_cndmask_b32 v10, 0, v10
	v_cndmask_b32_e32 v12, 0, v12, vcc_lo
	s_delay_alu instid0(VALU_DEP_4) | instskip(NEXT) | instid1(VALU_DEP_4)
	v_dual_fmac_f32 v109, v26, v28 :: v_dual_cndmask_b32 v14, 0, v14
	v_fmac_f32_e32 v129, v42, v28
	v_dual_fmac_f32 v132, v37, v28 :: v_dual_add_f32 v11, v122, v105
	s_delay_alu instid0(VALU_DEP_3)
	v_dual_cndmask_b32 v8, 0, v8 :: v_dual_add_f32 v17, v134, v109
	v_dual_cndmask_b32 v3, 0, v3 :: v_dual_lshlrev_b32 v36, 2, v112
	s_waitcnt lgkmcnt(0)
	v_add_f32_e32 v2, v2, v18
	ds_bpermute_b32 v26, v111, v10
	ds_bpermute_b32 v28, v111, v12
	v_fmac_f32_e32 v128, v45, v27
	v_add_f32_e32 v16, v131, v132
	ds_bpermute_b32 v24, v111, v8
	ds_bpermute_b32 v18, v36, v2
	v_xor_b32_e32 v34, 2, v1
	v_add_f32_e32 v7, v118, v96
	v_dual_add_f32 v15, v128, v129 :: v_dual_cndmask_b32 v16, 0, v16
	v_cndmask_b32_e32 v9, 0, v9, vcc_lo
	v_cndmask_b32_e32 v11, 0, v11, vcc_lo
	;; [unrolled: 1-line block ×3, first 2 shown]
	ds_bpermute_b32 v20, v111, v4
	v_cndmask_b32_e32 v5, 0, v5, vcc_lo
	ds_bpermute_b32 v22, v111, v6
	v_cndmask_b32_e32 v7, 0, v7, vcc_lo
	;; [unrolled: 2-line block ×4, first 2 shown]
	v_cmp_gt_i32_e32 vcc_lo, 32, v139
	s_waitcnt lgkmcnt(7)
	v_add_f32_e32 v10, v10, v26
	ds_bpermute_b32 v27, v111, v11
	s_waitcnt lgkmcnt(7)
	v_add_f32_e32 v12, v12, v28
	s_waitcnt lgkmcnt(6)
	v_dual_add_f32 v8, v8, v24 :: v_dual_cndmask_b32 v35, v1, v139
	s_waitcnt lgkmcnt(5)
	v_add_f32_e32 v2, v2, v18
	ds_bpermute_b32 v25, v111, v9
	ds_bpermute_b32 v26, v36, v10
	;; [unrolled: 1-line block ×3, first 2 shown]
	v_lshlrev_b32_e32 v35, 2, v35
	ds_bpermute_b32 v29, v111, v13
	s_waitcnt lgkmcnt(8)
	v_add_f32_e32 v4, v4, v20
	ds_bpermute_b32 v19, v111, v3
	s_waitcnt lgkmcnt(8)
	v_add_f32_e32 v6, v6, v22
	;; [unrolled: 3-line block ×4, first 2 shown]
	ds_bpermute_b32 v33, v111, v17
	ds_bpermute_b32 v31, v111, v15
	;; [unrolled: 1-line block ×3, first 2 shown]
	s_waitcnt lgkmcnt(10)
	v_add_f32_e32 v11, v11, v27
	v_cmp_gt_i32_e32 vcc_lo, 32, v34
	ds_bpermute_b32 v21, v111, v5
	ds_bpermute_b32 v23, v111, v7
	;; [unrolled: 1-line block ×3, first 2 shown]
	s_waitcnt lgkmcnt(11)
	v_dual_add_f32 v9, v9, v25 :: v_dual_add_f32 v10, v10, v26
	s_waitcnt lgkmcnt(10)
	v_add_f32_e32 v12, v12, v28
	ds_bpermute_b32 v27, v36, v11
	s_waitcnt lgkmcnt(10)
	v_add_f32_e32 v13, v13, v29
	ds_bpermute_b32 v25, v36, v9
	;; [unrolled: 3-line block ×5, first 2 shown]
	v_cndmask_b32_e32 v34, v1, v34, vcc_lo
	s_waitcnt lgkmcnt(8)
	v_dual_add_f32 v17, v17, v33 :: v_dual_add_f32 v14, v14, v30
	ds_bpermute_b32 v29, v36, v13
	ds_bpermute_b32 v19, v36, v3
	v_lshlrev_b32_e32 v34, 2, v34
	ds_bpermute_b32 v24, v36, v8
	ds_bpermute_b32 v20, v35, v4
	;; [unrolled: 1-line block ×3, first 2 shown]
	v_add_f32_e32 v15, v15, v31
	s_waitcnt lgkmcnt(10)
	v_dual_add_f32 v5, v5, v21 :: v_dual_add_f32 v6, v6, v22
	s_waitcnt lgkmcnt(9)
	v_add_f32_e32 v11, v11, v27
	s_waitcnt lgkmcnt(8)
	v_add_f32_e32 v9, v9, v25
	s_waitcnt lgkmcnt(7)
	v_dual_add_f32 v7, v7, v23 :: v_dual_add_f32 v16, v16, v32
	ds_bpermute_b32 v31, v36, v15
	s_waitcnt lgkmcnt(7)
	v_add_f32_e32 v10, v10, v26
	ds_bpermute_b32 v21, v36, v5
	s_waitcnt lgkmcnt(7)
	v_add_f32_e32 v12, v12, v28
	ds_bpermute_b32 v27, v35, v11
	ds_bpermute_b32 v22, v35, v6
	;; [unrolled: 1-line block ×3, first 2 shown]
	s_waitcnt lgkmcnt(9)
	v_add_f32_e32 v13, v13, v29
	s_waitcnt lgkmcnt(8)
	v_add_f32_e32 v3, v3, v19
	ds_bpermute_b32 v32, v35, v16
	s_waitcnt lgkmcnt(8)
	v_add_f32_e32 v8, v8, v24
	s_waitcnt lgkmcnt(7)
	v_add_f32_e32 v4, v4, v20
	ds_bpermute_b32 v23, v36, v7
	s_waitcnt lgkmcnt(7)
	v_add_f32_e32 v14, v14, v30
	ds_bpermute_b32 v29, v35, v13
	ds_bpermute_b32 v19, v35, v3
	;; [unrolled: 1-line block ×6, first 2 shown]
	s_waitcnt lgkmcnt(12)
	v_add_f32_e32 v15, v15, v31
	ds_bpermute_b32 v18, v34, v2
	s_waitcnt lgkmcnt(12)
	v_add_f32_e32 v5, v5, v21
	v_xor_b32_e32 v36, 1, v1
	s_waitcnt lgkmcnt(10)
	v_dual_add_f32 v11, v11, v27 :: v_dual_add_f32 v6, v6, v22
	s_waitcnt lgkmcnt(9)
	v_add_f32_e32 v10, v10, v26
	ds_bpermute_b32 v21, v35, v5
	ds_bpermute_b32 v30, v34, v14
	;; [unrolled: 1-line block ×3, first 2 shown]
	s_waitcnt lgkmcnt(11)
	v_add_f32_e32 v16, v16, v32
	ds_bpermute_b32 v31, v35, v15
	s_waitcnt lgkmcnt(11)
	v_add_f32_e32 v7, v7, v23
	ds_bpermute_b32 v22, v34, v6
	s_waitcnt lgkmcnt(11)
	v_add_f32_e32 v13, v13, v29
	s_waitcnt lgkmcnt(9)
	v_dual_add_f32 v3, v3, v19 :: v_dual_add_f32 v8, v8, v24
	s_waitcnt lgkmcnt(8)
	v_add_f32_e32 v4, v4, v20
	ds_bpermute_b32 v23, v35, v7
	s_waitcnt lgkmcnt(8)
	v_add_f32_e32 v17, v17, v33
	ds_bpermute_b32 v19, v34, v3
	ds_bpermute_b32 v24, v34, v8
	v_cmp_gt_i32_e32 vcc_lo, 32, v36
	s_waitcnt lgkmcnt(9)
	v_add_f32_e32 v9, v9, v25
	ds_bpermute_b32 v33, v35, v17
	ds_bpermute_b32 v28, v34, v12
	;; [unrolled: 1-line block ×3, first 2 shown]
	s_waitcnt lgkmcnt(11)
	v_dual_cndmask_b32 v35, v1, v36 :: v_dual_add_f32 v2, v2, v18
	s_waitcnt lgkmcnt(8)
	v_add_f32_e32 v20, v11, v27
	ds_bpermute_b32 v29, v34, v13
	s_waitcnt lgkmcnt(8)
	v_add_f32_e32 v15, v15, v31
	s_waitcnt lgkmcnt(7)
	v_dual_add_f32 v5, v5, v21 :: v_dual_add_f32 v6, v6, v22
	s_waitcnt lgkmcnt(6)
	v_add_f32_e32 v7, v7, v23
	s_waitcnt lgkmcnt(5)
	v_add_f32_e32 v18, v3, v19
	ds_bpermute_b32 v21, v34, v5
	s_waitcnt lgkmcnt(5)
	v_add_f32_e32 v8, v8, v24
	ds_bpermute_b32 v23, v34, v7
	ds_bpermute_b32 v25, v34, v9
	s_waitcnt lgkmcnt(3)
	v_add_f32_e32 v22, v13, v29
	ds_bpermute_b32 v31, v34, v15
	s_waitcnt lgkmcnt(0)
	v_dual_add_f32 v17, v17, v33 :: v_dual_add_f32 v24, v15, v31
	ds_bpermute_b32 v33, v34, v17
	v_lshlrev_b32_e32 v34, 2, v35
	v_add_f32_e32 v7, v7, v23
	ds_bpermute_b32 v11, v34, v2
	ds_bpermute_b32 v13, v34, v4
	v_add_f32_e32 v23, v14, v30
	ds_bpermute_b32 v30, v34, v10
	ds_bpermute_b32 v31, v34, v20
	;; [unrolled: 3-line block ×3, first 2 shown]
	s_waitcnt lgkmcnt(6)
	v_add_f32_e32 v26, v17, v33
	ds_bpermute_b32 v27, v34, v7
	v_add_f32_e32 v5, v5, v21
	ds_bpermute_b32 v33, v34, v22
	v_and_b32_e32 v3, 31, v0
	s_waitcnt lgkmcnt(7)
	v_add_f32_e32 v17, v2, v11
	ds_bpermute_b32 v14, v34, v5
	v_add_f32_e32 v21, v12, v28
	ds_bpermute_b32 v12, v34, v18
	s_waitcnt lgkmcnt(6)
	v_dual_add_f32 v11, v10, v30 :: v_dual_add_f32 v10, v20, v31
	ds_bpermute_b32 v29, v34, v9
	v_add_f32_e32 v25, v16, v32
	ds_bpermute_b32 v28, v34, v8
	s_waitcnt lgkmcnt(6)
	v_dual_add_f32 v15, v6, v15 :: v_dual_add_f32 v6, v24, v36
	s_waitcnt lgkmcnt(3)
	v_add_f32_e32 v16, v5, v14
	ds_bpermute_b32 v32, v34, v21
	s_waitcnt lgkmcnt(3)
	v_dual_add_f32 v19, v18, v12 :: v_dual_add_f32 v18, v4, v13
	ds_bpermute_b32 v35, v34, v23
	s_waitcnt lgkmcnt(3)
	v_add_f32_e32 v12, v9, v29
	ds_bpermute_b32 v37, v34, v25
	ds_bpermute_b32 v34, v34, v26
	s_waitcnt lgkmcnt(4)
	v_dual_add_f32 v14, v7, v27 :: v_dual_add_f32 v13, v8, v28
	s_waitcnt lgkmcnt(3)
	v_dual_add_f32 v8, v22, v33 :: v_dual_add_f32 v9, v21, v32
	s_waitcnt lgkmcnt(2)
	v_add_f32_e32 v7, v23, v35
	s_waitcnt lgkmcnt(0)
	v_dual_add_f32 v5, v25, v37 :: v_dual_add_f32 v4, v26, v34
	v_cmpx_gt_u32_e32 16, v3
	s_cbranch_execz .LBB9_4
; %bb.3:
	v_cmp_eq_u32_e32 vcc_lo, 1, v3
	v_lshrrev_b32_e32 v20, 3, v0
	v_cndmask_b32_e32 v2, v17, v19, vcc_lo
	v_cmp_eq_u32_e32 vcc_lo, 2, v3
	s_delay_alu instid0(VALU_DEP_3) | instskip(NEXT) | instid1(VALU_DEP_3)
	v_and_b32_e32 v20, 0x7c, v20
	v_cndmask_b32_e32 v2, v2, v18, vcc_lo
	v_cmp_eq_u32_e32 vcc_lo, 3, v3
	s_delay_alu instid0(VALU_DEP_3) | instskip(NEXT) | instid1(VALU_DEP_3)
	v_lshl_or_b32 v20, v3, 7, v20
	v_cndmask_b32_e32 v2, v2, v16, vcc_lo
	v_cmp_eq_u32_e32 vcc_lo, 4, v3
	s_delay_alu instid0(VALU_DEP_2) | instskip(SKIP_1) | instid1(VALU_DEP_2)
	v_cndmask_b32_e32 v2, v2, v15, vcc_lo
	v_cmp_eq_u32_e32 vcc_lo, 5, v3
	v_cndmask_b32_e32 v2, v2, v14, vcc_lo
	v_cmp_eq_u32_e32 vcc_lo, 6, v3
	s_delay_alu instid0(VALU_DEP_2) | instskip(SKIP_1) | instid1(VALU_DEP_2)
	v_cndmask_b32_e32 v2, v2, v13, vcc_lo
	v_cmp_eq_u32_e32 vcc_lo, 7, v3
	;; [unrolled: 5-line block ×6, first 2 shown]
	v_cndmask_b32_e32 v2, v2, v4, vcc_lo
	ds_store_b32 v20, v2
.LBB9_4:
	s_or_b32 exec_lo, exec_lo, s1
	s_and_b32 s0, 0xffff, s0
	v_cvt_f32_u32_e32 v21, v0
	s_lshr_b32 s14, s0, 5
	s_waitcnt lgkmcnt(0)
	v_cvt_f32_u32_e32 v2, s14
	s_barrier
	buffer_gl0_inv
	s_mov_b32 s1, exec_lo
	v_rcp_iflag_f32_e32 v20, v2
	s_waitcnt_depctr 0xfff
	v_mul_f32_e32 v20, v21, v20
	s_delay_alu instid0(VALU_DEP_1) | instskip(NEXT) | instid1(VALU_DEP_1)
	v_trunc_f32_e32 v20, v20
	v_fma_f32 v21, -v20, v2, v21
	v_cvt_u32_f32_e32 v20, v20
	s_delay_alu instid0(VALU_DEP_2) | instskip(NEXT) | instid1(VALU_DEP_2)
	v_cmp_ge_f32_e64 vcc_lo, |v21|, v2
	v_add_co_ci_u32_e32 v2, vcc_lo, 0, v20, vcc_lo
	s_delay_alu instid0(VALU_DEP_1)
	v_cmpx_gt_u16_e32 16, v2
	s_cbranch_execz .LBB9_18
; %bb.5:
	v_mul_lo_u16 v20, v2, s14
	v_cmp_eq_u16_e32 vcc_lo, 15, v2
	s_cmp_lt_u32 s0, 64
	s_delay_alu instid0(VALU_DEP_2) | instskip(NEXT) | instid1(VALU_DEP_1)
	v_sub_nc_u16 v0, v0, v20
	v_and_b32_e32 v20, 0xffff, v0
	v_and_b32_e32 v0, 0xffff, v2
	s_delay_alu instid0(VALU_DEP_2) | instskip(NEXT) | instid1(VALU_DEP_1)
	v_lshlrev_b32_e32 v20, 2, v20
	v_lshl_add_u32 v20, v0, 7, v20
	ds_load_b32 v20, v20
	s_waitcnt lgkmcnt(0)
	v_cndmask_b32_e32 v4, v4, v20, vcc_lo
	v_cmp_eq_u16_e32 vcc_lo, 14, v2
	v_cndmask_b32_e32 v5, v5, v20, vcc_lo
	v_cmp_eq_u16_e32 vcc_lo, 13, v2
	;; [unrolled: 2-line block ×15, first 2 shown]
	v_cndmask_b32_e32 v17, v17, v20, vcc_lo
	s_cbranch_scc1 .LBB9_8
; %bb.6:
	s_lshr_b32 s18, s0, 6
.LBB9_7:                                ; =>This Inner Loop Header: Depth=1
	s_delay_alu instid0(SALU_CYCLE_1)
	v_xor_b32_e32 v21, s18, v1
	v_cmp_eq_u32_e32 vcc_lo, 1, v0
	v_cmp_eq_u32_e64 s0, 2, v0
	v_cmp_eq_u32_e64 s1, 3, v0
	;; [unrolled: 1-line block ×3, first 2 shown]
	v_cmp_gt_i32_e64 s12, 32, v21
	v_cmp_eq_u32_e64 s3, 5, v0
	v_cmp_eq_u32_e64 s4, 6, v0
	;; [unrolled: 1-line block ×4, first 2 shown]
	v_cndmask_b32_e64 v21, v1, v21, s12
	v_cndmask_b32_e32 v20, v17, v19, vcc_lo
	v_cmp_eq_u32_e64 s7, 9, v0
	v_cmp_eq_u32_e64 s8, 10, v0
	v_cmp_eq_u32_e64 s9, 11, v0
	v_lshlrev_b32_e32 v21, 2, v21
	v_cndmask_b32_e64 v20, v20, v18, s0
	v_cmp_eq_u32_e64 s10, 12, v0
	v_cmp_eq_u32_e64 s11, 13, v0
	;; [unrolled: 1-line block ×4, first 2 shown]
	v_cndmask_b32_e64 v20, v20, v16, s1
	s_delay_alu instid0(VALU_DEP_1) | instskip(NEXT) | instid1(VALU_DEP_1)
	v_cndmask_b32_e64 v20, v20, v15, s2
	v_cndmask_b32_e64 v20, v20, v14, s3
	s_delay_alu instid0(VALU_DEP_1) | instskip(NEXT) | instid1(VALU_DEP_1)
	v_cndmask_b32_e64 v20, v20, v13, s4
	;; [unrolled: 3-line block ×6, first 2 shown]
	v_cndmask_b32_e64 v20, v20, v4, s13
	ds_bpermute_b32 v21, v21, v20
	s_waitcnt lgkmcnt(0)
	v_add_f32_e32 v20, v20, v21
	s_delay_alu instid0(VALU_DEP_1)
	v_cndmask_b32_e32 v19, v19, v20, vcc_lo
	v_cmp_eq_u32_e32 vcc_lo, 0, v0
	v_cndmask_b32_e64 v4, v4, v20, s13
	v_cndmask_b32_e64 v5, v5, v20, s12
	;; [unrolled: 1-line block ×14, first 2 shown]
	v_cndmask_b32_e32 v17, v17, v20, vcc_lo
	s_lshr_b32 s0, s18, 1
	s_cmp_lt_u32 s18, 2
	s_mov_b32 s18, s0
	s_cbranch_scc0 .LBB9_7
.LBB9_8:
	v_cmp_eq_u32_e32 vcc_lo, 1, v0
	s_lshl_b32 s0, s14, 1
	s_delay_alu instid0(VALU_DEP_2) | instskip(SKIP_1) | instid1(VALU_DEP_2)
	v_cndmask_b32_e32 v17, v17, v19, vcc_lo
	v_cmp_eq_u32_e32 vcc_lo, 2, v0
	v_cndmask_b32_e32 v17, v17, v18, vcc_lo
	v_cmp_eq_u32_e32 vcc_lo, 3, v0
	s_delay_alu instid0(VALU_DEP_2) | instskip(SKIP_1) | instid1(VALU_DEP_2)
	v_cndmask_b32_e32 v16, v17, v16, vcc_lo
	v_cmp_eq_u32_e32 vcc_lo, 4, v0
	v_cndmask_b32_e32 v15, v16, v15, vcc_lo
	v_cmp_eq_u32_e32 vcc_lo, 5, v0
	;; [unrolled: 5-line block ×3, first 2 shown]
	s_delay_alu instid0(VALU_DEP_2) | instskip(SKIP_2) | instid1(VALU_DEP_3)
	v_cndmask_b32_e32 v12, v13, v12, vcc_lo
	v_cmp_eq_u32_e32 vcc_lo, 8, v0
	v_cvt_f32_u32_e32 v13, s0
	v_cndmask_b32_e32 v11, v12, v11, vcc_lo
	v_cmp_eq_u32_e32 vcc_lo, 9, v0
	s_delay_alu instid0(VALU_DEP_3) | instskip(NEXT) | instid1(VALU_DEP_2)
	v_rcp_iflag_f32_e32 v12, v13
	v_cndmask_b32_e32 v10, v11, v10, vcc_lo
	v_cmp_eq_u32_e32 vcc_lo, 10, v0
	v_cvt_f32_ubyte0_e32 v11, v3
	s_delay_alu instid0(VALU_DEP_3)
	v_cndmask_b32_e32 v9, v10, v9, vcc_lo
	v_cmp_eq_u32_e32 vcc_lo, 11, v0
	s_waitcnt_depctr 0xfff
	v_mul_f32_e32 v10, v11, v12
	v_cndmask_b32_e32 v8, v9, v8, vcc_lo
	v_cmp_eq_u32_e32 vcc_lo, 12, v0
	s_delay_alu instid0(VALU_DEP_3) | instskip(NEXT) | instid1(VALU_DEP_3)
	v_trunc_f32_e32 v9, v10
	v_cndmask_b32_e32 v7, v8, v7, vcc_lo
	v_xor_b32_e32 v8, s14, v1
	v_cmp_eq_u32_e32 vcc_lo, 13, v0
	s_delay_alu instid0(VALU_DEP_4) | instskip(NEXT) | instid1(VALU_DEP_4)
	v_fma_f32 v10, -v9, v13, v11
	v_cndmask_b32_e32 v6, v7, v6, vcc_lo
	s_delay_alu instid0(VALU_DEP_4)
	v_cmp_gt_i32_e32 vcc_lo, 32, v8
	v_cvt_u32_f32_e32 v7, v9
	v_cndmask_b32_e32 v1, v1, v8, vcc_lo
	v_cmp_eq_u32_e32 vcc_lo, 14, v0
	v_cndmask_b32_e32 v5, v6, v5, vcc_lo
	v_cmp_ge_f32_e64 vcc_lo, |v10|, v13
	v_add_co_ci_u32_e32 v6, vcc_lo, 0, v7, vcc_lo
	v_cmp_eq_u32_e32 vcc_lo, 15, v0
	v_lshlrev_b32_e32 v0, 2, v1
	v_cndmask_b32_e32 v4, v5, v4, vcc_lo
	s_delay_alu instid0(VALU_DEP_4) | instskip(SKIP_2) | instid1(VALU_DEP_1)
	v_mul_lo_u32 v5, v6, s0
	ds_bpermute_b32 v1, v0, v4
	v_sub_nc_u32_e32 v0, v3, v5
	v_and_b32_e32 v0, 0xfff, v0
	s_delay_alu instid0(VALU_DEP_1)
	v_cmp_eq_u32_e32 vcc_lo, 0, v0
	s_and_b32 exec_lo, exec_lo, vcc_lo
	s_cbranch_execz .LBB9_18
; %bb.9:
	v_and_b32_e32 v0, 0x7f800000, v4
	s_delay_alu instid0(VALU_DEP_1) | instskip(SKIP_1) | instid1(SALU_CYCLE_1)
	v_cmp_ne_u32_e32 vcc_lo, 0x7f800000, v0
                                        ; implicit-def: $vgpr0
	s_and_saveexec_b32 s0, vcc_lo
	s_xor_b32 s0, exec_lo, s0
; %bb.10:
	v_bfe_u32 v0, v4, 16, 1
	s_delay_alu instid0(VALU_DEP_1)
	v_add3_u32 v0, v4, v0, 0x7fff
                                        ; implicit-def: $vgpr4
; %bb.11:
	s_and_not1_saveexec_b32 s0, s0
; %bb.12:
	v_and_b32_e32 v0, 0xffff, v4
	v_or_b32_e32 v3, 0x10000, v4
	s_delay_alu instid0(VALU_DEP_2) | instskip(NEXT) | instid1(VALU_DEP_2)
	v_cmp_eq_u32_e32 vcc_lo, 0, v0
	v_cndmask_b32_e32 v0, v3, v4, vcc_lo
; %bb.13:
	s_or_b32 exec_lo, exec_lo, s0
	s_waitcnt lgkmcnt(0)
	v_and_b32_e32 v3, 0x7f800000, v1
	s_delay_alu instid0(VALU_DEP_1) | instskip(SKIP_1) | instid1(SALU_CYCLE_1)
	v_cmp_ne_u32_e32 vcc_lo, 0x7f800000, v3
                                        ; implicit-def: $vgpr3
	s_and_saveexec_b32 s0, vcc_lo
	s_xor_b32 s0, exec_lo, s0
; %bb.14:
	v_bfe_u32 v3, v1, 16, 1
	s_delay_alu instid0(VALU_DEP_1)
	v_add3_u32 v3, v1, v3, 0x7fff
                                        ; implicit-def: $vgpr1
; %bb.15:
	s_and_not1_saveexec_b32 s0, s0
; %bb.16:
	v_and_b32_e32 v3, 0xffff, v1
	v_or_b32_e32 v4, 0x10000, v1
	s_delay_alu instid0(VALU_DEP_2) | instskip(NEXT) | instid1(VALU_DEP_2)
	v_cmp_eq_u32_e32 vcc_lo, 0, v3
	v_cndmask_b32_e32 v3, v4, v1, vcc_lo
; %bb.17:
	s_or_b32 exec_lo, exec_lo, s0
	v_lshrrev_b16 v1, 1, v2
	s_lshl_b32 s0, s15, 3
	s_delay_alu instid0(VALU_DEP_2) | instskip(NEXT) | instid1(VALU_DEP_2)
	v_perm_b32 v0, v3, v0, 0x7060302
	v_dual_mov_b32 v2, 0 :: v_dual_and_b32 v1, 0xffff, v1
	s_delay_alu instid0(VALU_DEP_1) | instskip(NEXT) | instid1(VALU_DEP_1)
	v_and_or_b32 v1, 0x7ffffff8, s0, v1
	v_lshlrev_b64 v[1:2], 2, v[1:2]
	s_delay_alu instid0(VALU_DEP_1) | instskip(NEXT) | instid1(VALU_DEP_2)
	v_add_co_u32 v1, vcc_lo, s16, v1
	v_add_co_ci_u32_e32 v2, vcc_lo, s17, v2, vcc_lo
	global_store_b32 v[1:2], v0, off
.LBB9_18:
	s_nop 0
	s_sendmsg sendmsg(MSG_DEALLOC_VGPRS)
	s_endpgm
	.section	.rodata,"a",@progbits
	.p2align	6, 0x0
	.amdhsa_kernel _ZN5aiter14LLGemm1_kernelI12hip_bfloat16Li16EEEvPKT_S4_PS2_i
		.amdhsa_group_segment_fixed_size 2048
		.amdhsa_private_segment_fixed_size 0
		.amdhsa_kernarg_size 288
		.amdhsa_user_sgpr_count 15
		.amdhsa_user_sgpr_dispatch_ptr 0
		.amdhsa_user_sgpr_queue_ptr 0
		.amdhsa_user_sgpr_kernarg_segment_ptr 1
		.amdhsa_user_sgpr_dispatch_id 0
		.amdhsa_user_sgpr_private_segment_size 0
		.amdhsa_wavefront_size32 1
		.amdhsa_uses_dynamic_stack 0
		.amdhsa_enable_private_segment 0
		.amdhsa_system_sgpr_workgroup_id_x 1
		.amdhsa_system_sgpr_workgroup_id_y 0
		.amdhsa_system_sgpr_workgroup_id_z 0
		.amdhsa_system_sgpr_workgroup_info 0
		.amdhsa_system_vgpr_workitem_id 0
		.amdhsa_next_free_vgpr 140
		.amdhsa_next_free_sgpr 19
		.amdhsa_reserve_vcc 1
		.amdhsa_float_round_mode_32 0
		.amdhsa_float_round_mode_16_64 0
		.amdhsa_float_denorm_mode_32 3
		.amdhsa_float_denorm_mode_16_64 3
		.amdhsa_dx10_clamp 1
		.amdhsa_ieee_mode 1
		.amdhsa_fp16_overflow 0
		.amdhsa_workgroup_processor_mode 1
		.amdhsa_memory_ordered 1
		.amdhsa_forward_progress 0
		.amdhsa_shared_vgpr_count 0
		.amdhsa_exception_fp_ieee_invalid_op 0
		.amdhsa_exception_fp_denorm_src 0
		.amdhsa_exception_fp_ieee_div_zero 0
		.amdhsa_exception_fp_ieee_overflow 0
		.amdhsa_exception_fp_ieee_underflow 0
		.amdhsa_exception_fp_ieee_inexact 0
		.amdhsa_exception_int_div_zero 0
	.end_amdhsa_kernel
	.section	.text._ZN5aiter14LLGemm1_kernelI12hip_bfloat16Li16EEEvPKT_S4_PS2_i,"axG",@progbits,_ZN5aiter14LLGemm1_kernelI12hip_bfloat16Li16EEEvPKT_S4_PS2_i,comdat
.Lfunc_end9:
	.size	_ZN5aiter14LLGemm1_kernelI12hip_bfloat16Li16EEEvPKT_S4_PS2_i, .Lfunc_end9-_ZN5aiter14LLGemm1_kernelI12hip_bfloat16Li16EEEvPKT_S4_PS2_i
                                        ; -- End function
	.section	.AMDGPU.csdata,"",@progbits
; Kernel info:
; codeLenInByte = 5152
; NumSgprs: 21
; NumVgprs: 140
; ScratchSize: 0
; MemoryBound: 0
; FloatMode: 240
; IeeeMode: 1
; LDSByteSize: 2048 bytes/workgroup (compile time only)
; SGPRBlocks: 2
; VGPRBlocks: 17
; NumSGPRsForWavesPerEU: 21
; NumVGPRsForWavesPerEU: 140
; Occupancy: 10
; WaveLimiterHint : 0
; COMPUTE_PGM_RSRC2:SCRATCH_EN: 0
; COMPUTE_PGM_RSRC2:USER_SGPR: 15
; COMPUTE_PGM_RSRC2:TRAP_HANDLER: 0
; COMPUTE_PGM_RSRC2:TGID_X_EN: 1
; COMPUTE_PGM_RSRC2:TGID_Y_EN: 0
; COMPUTE_PGM_RSRC2:TGID_Z_EN: 0
; COMPUTE_PGM_RSRC2:TIDIG_COMP_CNT: 0
	.text
	.p2align	2                               ; -- Begin function __ockl_fprintf_append_string_n
	.type	__ockl_fprintf_append_string_n,@function
__ockl_fprintf_append_string_n:         ; @__ockl_fprintf_append_string_n
; %bb.0:
	s_waitcnt vmcnt(0) expcnt(0) lgkmcnt(0)
	v_dual_mov_b32 v8, v3 :: v_dual_mov_b32 v7, v2
	v_or_b32_e32 v2, 2, v0
	v_cmp_eq_u32_e32 vcc_lo, 0, v6
	v_mbcnt_lo_u32_b32 v33, -1, 0
	s_mov_b32 s11, 0
	s_mov_b32 s0, exec_lo
	v_cndmask_b32_e32 v0, v2, v0, vcc_lo
	v_cmpx_ne_u64_e32 0, v[7:8]
	s_xor_b32 s10, exec_lo, s0
	s_cbranch_execz .LBB10_86
; %bb.1:
	s_load_b64 s[2:3], s[8:9], 0x50
	v_dual_mov_b32 v11, 2 :: v_dual_and_b32 v6, 2, v0
	v_mov_b32_e32 v10, 0
	v_and_b32_e32 v0, -3, v0
	v_mov_b32_e32 v12, 1
	s_mov_b32 s12, 0
	s_branch .LBB10_3
.LBB10_2:                               ;   in Loop: Header=BB10_3 Depth=1
	s_or_b32 exec_lo, exec_lo, s1
	v_sub_co_u32 v4, vcc_lo, v4, v29
	v_sub_co_ci_u32_e32 v5, vcc_lo, v5, v30, vcc_lo
	v_add_co_u32 v7, s0, v7, v29
	s_delay_alu instid0(VALU_DEP_1) | instskip(NEXT) | instid1(VALU_DEP_3)
	v_add_co_ci_u32_e64 v8, s0, v8, v30, s0
	v_cmp_eq_u64_e32 vcc_lo, 0, v[4:5]
	s_or_b32 s12, vcc_lo, s12
	s_delay_alu instid0(SALU_CYCLE_1)
	s_and_not1_b32 exec_lo, exec_lo, s12
	s_cbranch_execz .LBB10_85
.LBB10_3:                               ; =>This Loop Header: Depth=1
                                        ;     Child Loop BB10_6 Depth 2
                                        ;     Child Loop BB10_14 Depth 2
	;; [unrolled: 1-line block ×11, first 2 shown]
	v_cmp_gt_u64_e32 vcc_lo, 56, v[4:5]
	s_mov_b32 s1, exec_lo
                                        ; implicit-def: $vgpr2_vgpr3
                                        ; implicit-def: $sgpr4
	v_dual_cndmask_b32 v30, 0, v5 :: v_dual_cndmask_b32 v29, 56, v4
	v_cmpx_gt_u64_e32 8, v[4:5]
	s_xor_b32 s1, exec_lo, s1
	s_cbranch_execz .LBB10_9
; %bb.4:                                ;   in Loop: Header=BB10_3 Depth=1
	s_waitcnt vmcnt(0)
	v_mov_b32_e32 v2, 0
	v_mov_b32_e32 v3, 0
	s_mov_b64 s[4:5], 0
	s_mov_b32 s6, exec_lo
	v_cmpx_ne_u64_e32 0, v[4:5]
	s_cbranch_execz .LBB10_8
; %bb.5:                                ;   in Loop: Header=BB10_3 Depth=1
	v_lshlrev_b64 v[13:14], 3, v[29:30]
	v_dual_mov_b32 v2, 0 :: v_dual_mov_b32 v15, v8
	v_dual_mov_b32 v3, 0 :: v_dual_mov_b32 v14, v7
	s_mov_b32 s7, 0
	.p2align	6
.LBB10_6:                               ;   Parent Loop BB10_3 Depth=1
                                        ; =>  This Inner Loop Header: Depth=2
	flat_load_u8 v9, v[14:15]
	v_mov_b32_e32 v17, s11
	v_add_co_u32 v14, vcc_lo, v14, 1
	v_add_co_ci_u32_e32 v15, vcc_lo, 0, v15, vcc_lo
	s_waitcnt vmcnt(0) lgkmcnt(0)
	v_and_b32_e32 v16, 0xffff, v9
	s_delay_alu instid0(VALU_DEP_1) | instskip(SKIP_3) | instid1(VALU_DEP_2)
	v_lshlrev_b64 v[16:17], s4, v[16:17]
	s_add_u32 s4, s4, 8
	s_addc_u32 s5, s5, 0
	v_cmp_eq_u32_e64 s0, s4, v13
	v_or_b32_e32 v3, v17, v3
	s_delay_alu instid0(VALU_DEP_3) | instskip(NEXT) | instid1(VALU_DEP_3)
	v_or_b32_e32 v2, v16, v2
	s_or_b32 s7, s0, s7
	s_delay_alu instid0(SALU_CYCLE_1)
	s_and_not1_b32 exec_lo, exec_lo, s7
	s_cbranch_execnz .LBB10_6
; %bb.7:                                ;   in Loop: Header=BB10_3 Depth=1
	s_or_b32 exec_lo, exec_lo, s7
.LBB10_8:                               ;   in Loop: Header=BB10_3 Depth=1
	s_delay_alu instid0(SALU_CYCLE_1)
	s_or_b32 exec_lo, exec_lo, s6
	s_mov_b32 s4, 0
.LBB10_9:                               ;   in Loop: Header=BB10_3 Depth=1
	s_or_saveexec_b32 s0, s1
	v_dual_mov_b32 v9, s4 :: v_dual_mov_b32 v26, v8
	v_mov_b32_e32 v25, v7
	s_xor_b32 exec_lo, exec_lo, s0
	s_cbranch_execz .LBB10_11
; %bb.10:                               ;   in Loop: Header=BB10_3 Depth=1
	s_waitcnt vmcnt(0)
	flat_load_b64 v[2:3], v[7:8]
	v_add_co_u32 v25, vcc_lo, v7, 8
	v_add_co_ci_u32_e32 v26, vcc_lo, 0, v8, vcc_lo
	s_waitcnt vmcnt(0) lgkmcnt(0)
	v_and_b32_e32 v9, 0xff, v3
	v_and_b32_e32 v13, 0xff00, v3
	;; [unrolled: 1-line block ×4, first 2 shown]
	v_or3_b32 v2, v2, 0, 0
	s_delay_alu instid0(VALU_DEP_4) | instskip(SKIP_1) | instid1(VALU_DEP_2)
	v_or_b32_e32 v13, v9, v13
	v_add_nc_u32_e32 v9, -8, v29
	v_or3_b32 v3, v13, v14, v3
.LBB10_11:                              ;   in Loop: Header=BB10_3 Depth=1
	s_or_b32 exec_lo, exec_lo, s0
                                        ; implicit-def: $vgpr13_vgpr14
                                        ; implicit-def: $sgpr1
	s_delay_alu instid0(SALU_CYCLE_1) | instskip(NEXT) | instid1(VALU_DEP_2)
	s_mov_b32 s0, exec_lo
	v_cmpx_gt_u32_e32 8, v9
	s_xor_b32 s6, exec_lo, s0
	s_cbranch_execz .LBB10_17
; %bb.12:                               ;   in Loop: Header=BB10_3 Depth=1
	v_mov_b32_e32 v13, 0
	v_mov_b32_e32 v14, 0
	s_mov_b32 s7, exec_lo
	v_cmpx_ne_u32_e32 0, v9
	s_cbranch_execz .LBB10_16
; %bb.13:                               ;   in Loop: Header=BB10_3 Depth=1
	v_mov_b32_e32 v13, 0
	v_mov_b32_e32 v14, 0
	s_mov_b64 s[0:1], 0
	s_mov_b32 s13, 0
	s_mov_b64 s[4:5], 0
	.p2align	6
.LBB10_14:                              ;   Parent Loop BB10_3 Depth=1
                                        ; =>  This Inner Loop Header: Depth=2
	s_delay_alu instid0(SALU_CYCLE_1)
	v_add_co_u32 v15, vcc_lo, v25, s4
	v_add_co_ci_u32_e32 v16, vcc_lo, s5, v26, vcc_lo
	s_add_u32 s4, s4, 1
	s_addc_u32 s5, s5, 0
	v_cmp_eq_u32_e32 vcc_lo, s4, v9
	flat_load_u8 v15, v[15:16]
	s_waitcnt vmcnt(0) lgkmcnt(0)
	v_dual_mov_b32 v16, s11 :: v_dual_and_b32 v15, 0xffff, v15
	s_delay_alu instid0(VALU_DEP_1) | instskip(SKIP_3) | instid1(VALU_DEP_1)
	v_lshlrev_b64 v[15:16], s0, v[15:16]
	s_add_u32 s0, s0, 8
	s_addc_u32 s1, s1, 0
	s_or_b32 s13, vcc_lo, s13
	v_or_b32_e32 v14, v16, v14
	s_delay_alu instid0(VALU_DEP_2)
	v_or_b32_e32 v13, v15, v13
	s_and_not1_b32 exec_lo, exec_lo, s13
	s_cbranch_execnz .LBB10_14
; %bb.15:                               ;   in Loop: Header=BB10_3 Depth=1
	s_or_b32 exec_lo, exec_lo, s13
.LBB10_16:                              ;   in Loop: Header=BB10_3 Depth=1
	s_delay_alu instid0(SALU_CYCLE_1)
	s_or_b32 exec_lo, exec_lo, s7
	s_mov_b32 s1, 0
                                        ; implicit-def: $vgpr9
.LBB10_17:                              ;   in Loop: Header=BB10_3 Depth=1
	s_or_saveexec_b32 s0, s6
	v_mov_b32_e32 v17, s1
	s_xor_b32 exec_lo, exec_lo, s0
	s_cbranch_execz .LBB10_19
; %bb.18:                               ;   in Loop: Header=BB10_3 Depth=1
	flat_load_b64 v[13:14], v[25:26]
	v_add_co_u32 v25, vcc_lo, v25, 8
	v_add_nc_u32_e32 v17, -8, v9
	v_add_co_ci_u32_e32 v26, vcc_lo, 0, v26, vcc_lo
	s_waitcnt vmcnt(0) lgkmcnt(0)
	v_and_b32_e32 v15, 0xff, v14
	v_and_b32_e32 v16, 0xff00, v14
	;; [unrolled: 1-line block ×4, first 2 shown]
	v_or3_b32 v13, v13, 0, 0
	s_delay_alu instid0(VALU_DEP_4) | instskip(NEXT) | instid1(VALU_DEP_1)
	v_or_b32_e32 v15, v15, v16
	v_or3_b32 v14, v15, v18, v14
.LBB10_19:                              ;   in Loop: Header=BB10_3 Depth=1
	s_or_b32 exec_lo, exec_lo, s0
                                        ; implicit-def: $sgpr1
	s_delay_alu instid0(SALU_CYCLE_1)
	s_mov_b32 s0, exec_lo
	v_cmpx_gt_u32_e32 8, v17
	s_xor_b32 s6, exec_lo, s0
	s_cbranch_execz .LBB10_25
; %bb.20:                               ;   in Loop: Header=BB10_3 Depth=1
	v_mov_b32_e32 v15, 0
	v_mov_b32_e32 v16, 0
	s_mov_b32 s7, exec_lo
	v_cmpx_ne_u32_e32 0, v17
	s_cbranch_execz .LBB10_24
; %bb.21:                               ;   in Loop: Header=BB10_3 Depth=1
	v_mov_b32_e32 v15, 0
	v_mov_b32_e32 v16, 0
	s_mov_b64 s[0:1], 0
	s_mov_b32 s13, 0
	s_mov_b64 s[4:5], 0
	.p2align	6
.LBB10_22:                              ;   Parent Loop BB10_3 Depth=1
                                        ; =>  This Inner Loop Header: Depth=2
	s_delay_alu instid0(SALU_CYCLE_1)
	v_add_co_u32 v18, vcc_lo, v25, s4
	v_add_co_ci_u32_e32 v19, vcc_lo, s5, v26, vcc_lo
	s_add_u32 s4, s4, 1
	s_addc_u32 s5, s5, 0
	v_cmp_eq_u32_e32 vcc_lo, s4, v17
	flat_load_u8 v9, v[18:19]
	s_waitcnt vmcnt(0) lgkmcnt(0)
	v_dual_mov_b32 v19, s11 :: v_dual_and_b32 v18, 0xffff, v9
	s_delay_alu instid0(VALU_DEP_1) | instskip(SKIP_3) | instid1(VALU_DEP_1)
	v_lshlrev_b64 v[18:19], s0, v[18:19]
	s_add_u32 s0, s0, 8
	s_addc_u32 s1, s1, 0
	s_or_b32 s13, vcc_lo, s13
	v_or_b32_e32 v16, v19, v16
	s_delay_alu instid0(VALU_DEP_2)
	v_or_b32_e32 v15, v18, v15
	s_and_not1_b32 exec_lo, exec_lo, s13
	s_cbranch_execnz .LBB10_22
; %bb.23:                               ;   in Loop: Header=BB10_3 Depth=1
	s_or_b32 exec_lo, exec_lo, s13
.LBB10_24:                              ;   in Loop: Header=BB10_3 Depth=1
	s_delay_alu instid0(SALU_CYCLE_1)
	s_or_b32 exec_lo, exec_lo, s7
	s_mov_b32 s1, 0
                                        ; implicit-def: $vgpr17
.LBB10_25:                              ;   in Loop: Header=BB10_3 Depth=1
	s_or_saveexec_b32 s0, s6
	v_mov_b32_e32 v9, s1
	s_xor_b32 exec_lo, exec_lo, s0
	s_cbranch_execz .LBB10_27
; %bb.26:                               ;   in Loop: Header=BB10_3 Depth=1
	flat_load_b64 v[15:16], v[25:26]
	v_add_co_u32 v25, vcc_lo, v25, 8
	v_add_co_ci_u32_e32 v26, vcc_lo, 0, v26, vcc_lo
	s_waitcnt vmcnt(0) lgkmcnt(0)
	v_and_b32_e32 v9, 0xff, v16
	v_and_b32_e32 v18, 0xff00, v16
	;; [unrolled: 1-line block ×4, first 2 shown]
	v_or3_b32 v15, v15, 0, 0
	s_delay_alu instid0(VALU_DEP_4) | instskip(SKIP_1) | instid1(VALU_DEP_2)
	v_or_b32_e32 v18, v9, v18
	v_add_nc_u32_e32 v9, -8, v17
	v_or3_b32 v16, v18, v19, v16
.LBB10_27:                              ;   in Loop: Header=BB10_3 Depth=1
	s_or_b32 exec_lo, exec_lo, s0
                                        ; implicit-def: $vgpr17_vgpr18
                                        ; implicit-def: $sgpr1
	s_delay_alu instid0(SALU_CYCLE_1) | instskip(NEXT) | instid1(VALU_DEP_1)
	s_mov_b32 s0, exec_lo
	v_cmpx_gt_u32_e32 8, v9
	s_xor_b32 s6, exec_lo, s0
	s_cbranch_execz .LBB10_33
; %bb.28:                               ;   in Loop: Header=BB10_3 Depth=1
	v_mov_b32_e32 v17, 0
	v_mov_b32_e32 v18, 0
	s_mov_b32 s7, exec_lo
	v_cmpx_ne_u32_e32 0, v9
	s_cbranch_execz .LBB10_32
; %bb.29:                               ;   in Loop: Header=BB10_3 Depth=1
	v_mov_b32_e32 v17, 0
	v_mov_b32_e32 v18, 0
	s_mov_b64 s[0:1], 0
	s_mov_b32 s13, 0
	s_mov_b64 s[4:5], 0
	.p2align	6
.LBB10_30:                              ;   Parent Loop BB10_3 Depth=1
                                        ; =>  This Inner Loop Header: Depth=2
	s_delay_alu instid0(SALU_CYCLE_1)
	v_add_co_u32 v19, vcc_lo, v25, s4
	v_add_co_ci_u32_e32 v20, vcc_lo, s5, v26, vcc_lo
	s_add_u32 s4, s4, 1
	s_addc_u32 s5, s5, 0
	v_cmp_eq_u32_e32 vcc_lo, s4, v9
	flat_load_u8 v19, v[19:20]
	s_waitcnt vmcnt(0) lgkmcnt(0)
	v_dual_mov_b32 v20, s11 :: v_dual_and_b32 v19, 0xffff, v19
	s_delay_alu instid0(VALU_DEP_1) | instskip(SKIP_3) | instid1(VALU_DEP_1)
	v_lshlrev_b64 v[19:20], s0, v[19:20]
	s_add_u32 s0, s0, 8
	s_addc_u32 s1, s1, 0
	s_or_b32 s13, vcc_lo, s13
	v_or_b32_e32 v18, v20, v18
	s_delay_alu instid0(VALU_DEP_2)
	v_or_b32_e32 v17, v19, v17
	s_and_not1_b32 exec_lo, exec_lo, s13
	s_cbranch_execnz .LBB10_30
; %bb.31:                               ;   in Loop: Header=BB10_3 Depth=1
	s_or_b32 exec_lo, exec_lo, s13
.LBB10_32:                              ;   in Loop: Header=BB10_3 Depth=1
	s_delay_alu instid0(SALU_CYCLE_1)
	s_or_b32 exec_lo, exec_lo, s7
	s_mov_b32 s1, 0
                                        ; implicit-def: $vgpr9
.LBB10_33:                              ;   in Loop: Header=BB10_3 Depth=1
	s_or_saveexec_b32 s0, s6
	v_mov_b32_e32 v21, s1
	s_xor_b32 exec_lo, exec_lo, s0
	s_cbranch_execz .LBB10_35
; %bb.34:                               ;   in Loop: Header=BB10_3 Depth=1
	flat_load_b64 v[17:18], v[25:26]
	v_add_co_u32 v25, vcc_lo, v25, 8
	v_add_nc_u32_e32 v21, -8, v9
	v_add_co_ci_u32_e32 v26, vcc_lo, 0, v26, vcc_lo
	s_waitcnt vmcnt(0) lgkmcnt(0)
	v_and_b32_e32 v19, 0xff, v18
	v_and_b32_e32 v20, 0xff00, v18
	;; [unrolled: 1-line block ×4, first 2 shown]
	v_or3_b32 v17, v17, 0, 0
	s_delay_alu instid0(VALU_DEP_4) | instskip(NEXT) | instid1(VALU_DEP_1)
	v_or_b32_e32 v19, v19, v20
	v_or3_b32 v18, v19, v22, v18
.LBB10_35:                              ;   in Loop: Header=BB10_3 Depth=1
	s_or_b32 exec_lo, exec_lo, s0
                                        ; implicit-def: $sgpr1
	s_delay_alu instid0(SALU_CYCLE_1)
	s_mov_b32 s0, exec_lo
	v_cmpx_gt_u32_e32 8, v21
	s_xor_b32 s6, exec_lo, s0
	s_cbranch_execz .LBB10_41
; %bb.36:                               ;   in Loop: Header=BB10_3 Depth=1
	v_mov_b32_e32 v19, 0
	v_mov_b32_e32 v20, 0
	s_mov_b32 s7, exec_lo
	v_cmpx_ne_u32_e32 0, v21
	s_cbranch_execz .LBB10_40
; %bb.37:                               ;   in Loop: Header=BB10_3 Depth=1
	v_mov_b32_e32 v19, 0
	v_mov_b32_e32 v20, 0
	s_mov_b64 s[0:1], 0
	s_mov_b32 s13, 0
	s_mov_b64 s[4:5], 0
	.p2align	6
.LBB10_38:                              ;   Parent Loop BB10_3 Depth=1
                                        ; =>  This Inner Loop Header: Depth=2
	s_delay_alu instid0(SALU_CYCLE_1)
	v_add_co_u32 v22, vcc_lo, v25, s4
	v_add_co_ci_u32_e32 v23, vcc_lo, s5, v26, vcc_lo
	s_add_u32 s4, s4, 1
	s_addc_u32 s5, s5, 0
	v_cmp_eq_u32_e32 vcc_lo, s4, v21
	flat_load_u8 v9, v[22:23]
	s_waitcnt vmcnt(0) lgkmcnt(0)
	v_dual_mov_b32 v23, s11 :: v_dual_and_b32 v22, 0xffff, v9
	s_delay_alu instid0(VALU_DEP_1) | instskip(SKIP_3) | instid1(VALU_DEP_1)
	v_lshlrev_b64 v[22:23], s0, v[22:23]
	s_add_u32 s0, s0, 8
	s_addc_u32 s1, s1, 0
	s_or_b32 s13, vcc_lo, s13
	v_or_b32_e32 v20, v23, v20
	s_delay_alu instid0(VALU_DEP_2)
	v_or_b32_e32 v19, v22, v19
	s_and_not1_b32 exec_lo, exec_lo, s13
	s_cbranch_execnz .LBB10_38
; %bb.39:                               ;   in Loop: Header=BB10_3 Depth=1
	s_or_b32 exec_lo, exec_lo, s13
.LBB10_40:                              ;   in Loop: Header=BB10_3 Depth=1
	s_delay_alu instid0(SALU_CYCLE_1)
	s_or_b32 exec_lo, exec_lo, s7
	s_mov_b32 s1, 0
                                        ; implicit-def: $vgpr21
.LBB10_41:                              ;   in Loop: Header=BB10_3 Depth=1
	s_or_saveexec_b32 s0, s6
	v_mov_b32_e32 v9, s1
	s_xor_b32 exec_lo, exec_lo, s0
	s_cbranch_execz .LBB10_43
; %bb.42:                               ;   in Loop: Header=BB10_3 Depth=1
	flat_load_b64 v[19:20], v[25:26]
	v_add_co_u32 v25, vcc_lo, v25, 8
	v_add_co_ci_u32_e32 v26, vcc_lo, 0, v26, vcc_lo
	s_waitcnt vmcnt(0) lgkmcnt(0)
	v_and_b32_e32 v9, 0xff, v20
	v_and_b32_e32 v22, 0xff00, v20
	;; [unrolled: 1-line block ×4, first 2 shown]
	v_or3_b32 v19, v19, 0, 0
	s_delay_alu instid0(VALU_DEP_4) | instskip(SKIP_1) | instid1(VALU_DEP_2)
	v_or_b32_e32 v22, v9, v22
	v_add_nc_u32_e32 v9, -8, v21
	v_or3_b32 v20, v22, v23, v20
.LBB10_43:                              ;   in Loop: Header=BB10_3 Depth=1
	s_or_b32 exec_lo, exec_lo, s0
                                        ; implicit-def: $vgpr21_vgpr22
                                        ; implicit-def: $sgpr1
	s_delay_alu instid0(SALU_CYCLE_1) | instskip(NEXT) | instid1(VALU_DEP_1)
	s_mov_b32 s0, exec_lo
	v_cmpx_gt_u32_e32 8, v9
	s_xor_b32 s6, exec_lo, s0
	s_cbranch_execz .LBB10_49
; %bb.44:                               ;   in Loop: Header=BB10_3 Depth=1
	v_mov_b32_e32 v21, 0
	v_mov_b32_e32 v22, 0
	s_mov_b32 s7, exec_lo
	v_cmpx_ne_u32_e32 0, v9
	s_cbranch_execz .LBB10_48
; %bb.45:                               ;   in Loop: Header=BB10_3 Depth=1
	v_mov_b32_e32 v21, 0
	v_mov_b32_e32 v22, 0
	s_mov_b64 s[0:1], 0
	s_mov_b32 s13, 0
	s_mov_b64 s[4:5], 0
	.p2align	6
.LBB10_46:                              ;   Parent Loop BB10_3 Depth=1
                                        ; =>  This Inner Loop Header: Depth=2
	s_delay_alu instid0(SALU_CYCLE_1)
	v_add_co_u32 v23, vcc_lo, v25, s4
	v_add_co_ci_u32_e32 v24, vcc_lo, s5, v26, vcc_lo
	s_add_u32 s4, s4, 1
	s_addc_u32 s5, s5, 0
	v_cmp_eq_u32_e32 vcc_lo, s4, v9
	flat_load_u8 v23, v[23:24]
	s_waitcnt vmcnt(0) lgkmcnt(0)
	v_dual_mov_b32 v24, s11 :: v_dual_and_b32 v23, 0xffff, v23
	s_delay_alu instid0(VALU_DEP_1) | instskip(SKIP_3) | instid1(VALU_DEP_1)
	v_lshlrev_b64 v[23:24], s0, v[23:24]
	s_add_u32 s0, s0, 8
	s_addc_u32 s1, s1, 0
	s_or_b32 s13, vcc_lo, s13
	v_or_b32_e32 v22, v24, v22
	s_delay_alu instid0(VALU_DEP_2)
	v_or_b32_e32 v21, v23, v21
	s_and_not1_b32 exec_lo, exec_lo, s13
	s_cbranch_execnz .LBB10_46
; %bb.47:                               ;   in Loop: Header=BB10_3 Depth=1
	s_or_b32 exec_lo, exec_lo, s13
.LBB10_48:                              ;   in Loop: Header=BB10_3 Depth=1
	s_delay_alu instid0(SALU_CYCLE_1)
	s_or_b32 exec_lo, exec_lo, s7
	s_mov_b32 s1, 0
                                        ; implicit-def: $vgpr9
.LBB10_49:                              ;   in Loop: Header=BB10_3 Depth=1
	s_or_saveexec_b32 s0, s6
	v_mov_b32_e32 v27, s1
	s_xor_b32 exec_lo, exec_lo, s0
	s_cbranch_execz .LBB10_51
; %bb.50:                               ;   in Loop: Header=BB10_3 Depth=1
	flat_load_b64 v[21:22], v[25:26]
	v_add_co_u32 v25, vcc_lo, v25, 8
	v_add_nc_u32_e32 v27, -8, v9
	v_add_co_ci_u32_e32 v26, vcc_lo, 0, v26, vcc_lo
	s_waitcnt vmcnt(0) lgkmcnt(0)
	v_and_b32_e32 v23, 0xff, v22
	v_and_b32_e32 v24, 0xff00, v22
	;; [unrolled: 1-line block ×4, first 2 shown]
	v_or3_b32 v21, v21, 0, 0
	s_delay_alu instid0(VALU_DEP_4) | instskip(NEXT) | instid1(VALU_DEP_1)
	v_or_b32_e32 v23, v23, v24
	v_or3_b32 v22, v23, v28, v22
.LBB10_51:                              ;   in Loop: Header=BB10_3 Depth=1
	s_or_b32 exec_lo, exec_lo, s0
	s_delay_alu instid0(SALU_CYCLE_1)
	s_mov_b32 s0, exec_lo
	v_cmpx_gt_u32_e32 8, v27
	s_xor_b32 s4, exec_lo, s0
	s_cbranch_execz .LBB10_57
; %bb.52:                               ;   in Loop: Header=BB10_3 Depth=1
	v_mov_b32_e32 v23, 0
	v_mov_b32_e32 v24, 0
	s_mov_b32 s5, exec_lo
	v_cmpx_ne_u32_e32 0, v27
	s_cbranch_execz .LBB10_56
; %bb.53:                               ;   in Loop: Header=BB10_3 Depth=1
	v_mov_b32_e32 v23, 0
	v_mov_b32_e32 v24, 0
	s_mov_b64 s[0:1], 0
	s_mov_b32 s6, 0
	.p2align	6
.LBB10_54:                              ;   Parent Loop BB10_3 Depth=1
                                        ; =>  This Inner Loop Header: Depth=2
	flat_load_u8 v9, v[25:26]
	v_dual_mov_b32 v32, s11 :: v_dual_add_nc_u32 v27, -1, v27
	v_add_co_u32 v25, vcc_lo, v25, 1
	v_add_co_ci_u32_e32 v26, vcc_lo, 0, v26, vcc_lo
	s_delay_alu instid0(VALU_DEP_3) | instskip(SKIP_2) | instid1(VALU_DEP_1)
	v_cmp_eq_u32_e32 vcc_lo, 0, v27
	s_waitcnt vmcnt(0) lgkmcnt(0)
	v_and_b32_e32 v31, 0xffff, v9
	v_lshlrev_b64 v[31:32], s0, v[31:32]
	s_add_u32 s0, s0, 8
	s_addc_u32 s1, s1, 0
	s_or_b32 s6, vcc_lo, s6
	s_delay_alu instid0(VALU_DEP_1) | instskip(NEXT) | instid1(VALU_DEP_2)
	v_or_b32_e32 v24, v32, v24
	v_or_b32_e32 v23, v31, v23
	s_and_not1_b32 exec_lo, exec_lo, s6
	s_cbranch_execnz .LBB10_54
; %bb.55:                               ;   in Loop: Header=BB10_3 Depth=1
	s_or_b32 exec_lo, exec_lo, s6
.LBB10_56:                              ;   in Loop: Header=BB10_3 Depth=1
	s_delay_alu instid0(SALU_CYCLE_1)
	s_or_b32 exec_lo, exec_lo, s5
                                        ; implicit-def: $vgpr25_vgpr26
.LBB10_57:                              ;   in Loop: Header=BB10_3 Depth=1
	s_and_not1_saveexec_b32 s0, s4
	s_cbranch_execz .LBB10_59
; %bb.58:                               ;   in Loop: Header=BB10_3 Depth=1
	flat_load_b64 v[23:24], v[25:26]
	s_waitcnt vmcnt(0) lgkmcnt(0)
	v_and_b32_e32 v9, 0xff, v24
	v_and_b32_e32 v25, 0xff00, v24
	v_and_b32_e32 v26, 0xff0000, v24
	v_and_b32_e32 v24, 0xff000000, v24
	v_or3_b32 v23, v23, 0, 0
	s_delay_alu instid0(VALU_DEP_4) | instskip(NEXT) | instid1(VALU_DEP_1)
	v_or_b32_e32 v9, v9, v25
	v_or3_b32 v24, v9, v26, v24
.LBB10_59:                              ;   in Loop: Header=BB10_3 Depth=1
	s_or_b32 exec_lo, exec_lo, s0
	v_readfirstlane_b32 s0, v33
	v_mov_b32_e32 v31, 0
	v_mov_b32_e32 v32, 0
	s_delay_alu instid0(VALU_DEP_3) | instskip(NEXT) | instid1(VALU_DEP_1)
	v_cmp_eq_u32_e64 s0, s0, v33
	s_and_saveexec_b32 s1, s0
	s_cbranch_execz .LBB10_65
; %bb.60:                               ;   in Loop: Header=BB10_3 Depth=1
	s_waitcnt lgkmcnt(0)
	global_load_b64 v[27:28], v10, s[2:3] offset:24 glc
	s_waitcnt vmcnt(0)
	buffer_gl1_inv
	buffer_gl0_inv
	s_clause 0x1
	global_load_b64 v[25:26], v10, s[2:3] offset:40
	global_load_b64 v[31:32], v10, s[2:3]
	s_mov_b32 s4, exec_lo
	s_waitcnt vmcnt(1)
	v_and_b32_e32 v9, v26, v28
	v_and_b32_e32 v25, v25, v27
	s_delay_alu instid0(VALU_DEP_2) | instskip(NEXT) | instid1(VALU_DEP_2)
	v_mul_lo_u32 v9, v9, 24
	v_mul_hi_u32 v26, v25, 24
	v_mul_lo_u32 v25, v25, 24
	s_delay_alu instid0(VALU_DEP_2) | instskip(SKIP_1) | instid1(VALU_DEP_2)
	v_add_nc_u32_e32 v9, v26, v9
	s_waitcnt vmcnt(0)
	v_add_co_u32 v25, vcc_lo, v31, v25
	s_delay_alu instid0(VALU_DEP_2)
	v_add_co_ci_u32_e32 v26, vcc_lo, v32, v9, vcc_lo
	global_load_b64 v[25:26], v[25:26], off glc
	s_waitcnt vmcnt(0)
	global_atomic_cmpswap_b64 v[31:32], v10, v[25:28], s[2:3] offset:24 glc
	s_waitcnt vmcnt(0)
	buffer_gl1_inv
	buffer_gl0_inv
	v_cmpx_ne_u64_e64 v[31:32], v[27:28]
	s_cbranch_execz .LBB10_64
; %bb.61:                               ;   in Loop: Header=BB10_3 Depth=1
	s_mov_b32 s5, 0
	.p2align	6
.LBB10_62:                              ;   Parent Loop BB10_3 Depth=1
                                        ; =>  This Inner Loop Header: Depth=2
	s_sleep 1
	s_clause 0x1
	global_load_b64 v[25:26], v10, s[2:3] offset:40
	global_load_b64 v[34:35], v10, s[2:3]
	v_dual_mov_b32 v27, v31 :: v_dual_mov_b32 v28, v32
	s_waitcnt vmcnt(1)
	s_delay_alu instid0(VALU_DEP_1) | instskip(SKIP_1) | instid1(VALU_DEP_1)
	v_and_b32_e32 v9, v25, v27
	s_waitcnt vmcnt(0)
	v_mad_u64_u32 v[31:32], null, v9, 24, v[34:35]
	s_delay_alu instid0(VALU_DEP_1) | instskip(NEXT) | instid1(VALU_DEP_1)
	v_dual_mov_b32 v9, v32 :: v_dual_and_b32 v34, v26, v28
	v_mad_u64_u32 v[25:26], null, v34, 24, v[9:10]
	s_delay_alu instid0(VALU_DEP_1)
	v_mov_b32_e32 v32, v25
	global_load_b64 v[25:26], v[31:32], off glc
	s_waitcnt vmcnt(0)
	global_atomic_cmpswap_b64 v[31:32], v10, v[25:28], s[2:3] offset:24 glc
	s_waitcnt vmcnt(0)
	buffer_gl1_inv
	buffer_gl0_inv
	v_cmp_eq_u64_e32 vcc_lo, v[31:32], v[27:28]
	s_or_b32 s5, vcc_lo, s5
	s_delay_alu instid0(SALU_CYCLE_1)
	s_and_not1_b32 exec_lo, exec_lo, s5
	s_cbranch_execnz .LBB10_62
; %bb.63:                               ;   in Loop: Header=BB10_3 Depth=1
	s_or_b32 exec_lo, exec_lo, s5
.LBB10_64:                              ;   in Loop: Header=BB10_3 Depth=1
	s_delay_alu instid0(SALU_CYCLE_1)
	s_or_b32 exec_lo, exec_lo, s4
.LBB10_65:                              ;   in Loop: Header=BB10_3 Depth=1
	s_delay_alu instid0(SALU_CYCLE_1)
	s_or_b32 exec_lo, exec_lo, s1
	s_waitcnt lgkmcnt(0)
	s_clause 0x1
	global_load_b64 v[34:35], v10, s[2:3] offset:40
	global_load_b128 v[25:28], v10, s[2:3]
	v_readfirstlane_b32 s4, v31
	v_readfirstlane_b32 s5, v32
	s_mov_b32 s1, exec_lo
	s_waitcnt vmcnt(1)
	v_readfirstlane_b32 s6, v34
	v_readfirstlane_b32 s7, v35
	s_delay_alu instid0(VALU_DEP_1) | instskip(NEXT) | instid1(SALU_CYCLE_1)
	s_and_b64 s[6:7], s[4:5], s[6:7]
	s_mul_i32 s13, s7, 24
	s_mul_hi_u32 s14, s6, 24
	s_mul_i32 s15, s6, 24
	s_add_i32 s14, s14, s13
	s_waitcnt vmcnt(0)
	v_add_co_u32 v31, vcc_lo, v25, s15
	v_add_co_ci_u32_e32 v32, vcc_lo, s14, v26, vcc_lo
	s_and_saveexec_b32 s13, s0
	s_cbranch_execz .LBB10_67
; %bb.66:                               ;   in Loop: Header=BB10_3 Depth=1
	v_mov_b32_e32 v9, s1
	global_store_b128 v[31:32], v[9:12], off offset:8
.LBB10_67:                              ;   in Loop: Header=BB10_3 Depth=1
	s_or_b32 exec_lo, exec_lo, s13
	v_cmp_lt_u64_e32 vcc_lo, 56, v[4:5]
	v_or_b32_e32 v9, 0, v1
	v_or_b32_e32 v34, v0, v6
	v_lshl_add_u32 v35, v29, 2, 28
	s_lshl_b64 s[6:7], s[6:7], 12
	s_delay_alu instid0(SALU_CYCLE_1) | instskip(NEXT) | instid1(VALU_DEP_1)
	v_add_co_u32 v27, s1, v27, s6
	v_add_co_ci_u32_e64 v28, s1, s7, v28, s1
	v_dual_cndmask_b32 v1, v9, v1 :: v_dual_cndmask_b32 v0, v34, v0
	v_and_b32_e32 v9, 0x1e0, v35
	v_lshlrev_b32_e32 v34, 6, v33
	v_readfirstlane_b32 s6, v27
	v_readfirstlane_b32 s7, v28
	s_delay_alu instid0(VALU_DEP_4)
	v_and_or_b32 v0, 0xffffff1f, v0, v9
	s_clause 0x3
	global_store_b128 v34, v[0:3], s[6:7]
	global_store_b128 v34, v[13:16], s[6:7] offset:16
	global_store_b128 v34, v[17:20], s[6:7] offset:32
	;; [unrolled: 1-line block ×3, first 2 shown]
	s_and_saveexec_b32 s1, s0
	s_cbranch_execz .LBB10_75
; %bb.68:                               ;   in Loop: Header=BB10_3 Depth=1
	s_clause 0x1
	global_load_b64 v[17:18], v10, s[2:3] offset:32 glc
	global_load_b64 v[0:1], v10, s[2:3] offset:40
	v_dual_mov_b32 v15, s4 :: v_dual_mov_b32 v16, s5
	s_waitcnt vmcnt(0)
	v_readfirstlane_b32 s6, v0
	v_readfirstlane_b32 s7, v1
	s_delay_alu instid0(VALU_DEP_1) | instskip(NEXT) | instid1(SALU_CYCLE_1)
	s_and_b64 s[6:7], s[6:7], s[4:5]
	s_mul_i32 s7, s7, 24
	s_mul_hi_u32 s13, s6, 24
	s_mul_i32 s6, s6, 24
	s_add_i32 s13, s13, s7
	v_add_co_u32 v13, vcc_lo, v25, s6
	v_add_co_ci_u32_e32 v14, vcc_lo, s13, v26, vcc_lo
	s_mov_b32 s6, exec_lo
	global_store_b64 v[13:14], v[17:18], off
	s_waitcnt_vscnt null, 0x0
	global_atomic_cmpswap_b64 v[2:3], v10, v[15:18], s[2:3] offset:32 glc
	s_waitcnt vmcnt(0)
	v_cmpx_ne_u64_e64 v[2:3], v[17:18]
	s_cbranch_execz .LBB10_71
; %bb.69:                               ;   in Loop: Header=BB10_3 Depth=1
	s_mov_b32 s7, 0
.LBB10_70:                              ;   Parent Loop BB10_3 Depth=1
                                        ; =>  This Inner Loop Header: Depth=2
	v_dual_mov_b32 v0, s4 :: v_dual_mov_b32 v1, s5
	s_sleep 1
	global_store_b64 v[13:14], v[2:3], off
	s_waitcnt_vscnt null, 0x0
	global_atomic_cmpswap_b64 v[0:1], v10, v[0:3], s[2:3] offset:32 glc
	s_waitcnt vmcnt(0)
	v_cmp_eq_u64_e32 vcc_lo, v[0:1], v[2:3]
	v_dual_mov_b32 v3, v1 :: v_dual_mov_b32 v2, v0
	s_or_b32 s7, vcc_lo, s7
	s_delay_alu instid0(SALU_CYCLE_1)
	s_and_not1_b32 exec_lo, exec_lo, s7
	s_cbranch_execnz .LBB10_70
.LBB10_71:                              ;   in Loop: Header=BB10_3 Depth=1
	s_or_b32 exec_lo, exec_lo, s6
	global_load_b64 v[0:1], v10, s[2:3] offset:16
	s_mov_b32 s7, exec_lo
	s_mov_b32 s6, exec_lo
	v_mbcnt_lo_u32_b32 v2, s7, 0
	s_delay_alu instid0(VALU_DEP_1)
	v_cmpx_eq_u32_e32 0, v2
	s_cbranch_execz .LBB10_73
; %bb.72:                               ;   in Loop: Header=BB10_3 Depth=1
	s_bcnt1_i32_b32 s7, s7
	s_delay_alu instid0(SALU_CYCLE_1)
	v_mov_b32_e32 v9, s7
	s_waitcnt vmcnt(0)
	global_atomic_add_u64 v[0:1], v[9:10], off offset:8
.LBB10_73:                              ;   in Loop: Header=BB10_3 Depth=1
	s_or_b32 exec_lo, exec_lo, s6
	s_waitcnt vmcnt(0)
	global_load_b64 v[2:3], v[0:1], off offset:16
	s_waitcnt vmcnt(0)
	v_cmp_eq_u64_e32 vcc_lo, 0, v[2:3]
	s_cbranch_vccnz .LBB10_75
; %bb.74:                               ;   in Loop: Header=BB10_3 Depth=1
	global_load_b32 v9, v[0:1], off offset:24
	s_waitcnt vmcnt(0)
	v_and_b32_e32 v0, 0xffffff, v9
	s_waitcnt_vscnt null, 0x0
	global_store_b64 v[2:3], v[9:10], off
	v_readfirstlane_b32 m0, v0
	s_sendmsg sendmsg(MSG_INTERRUPT)
.LBB10_75:                              ;   in Loop: Header=BB10_3 Depth=1
	s_or_b32 exec_lo, exec_lo, s1
	v_add_co_u32 v0, vcc_lo, v27, v34
	v_add_co_ci_u32_e32 v1, vcc_lo, 0, v28, vcc_lo
	s_branch .LBB10_79
	.p2align	6
.LBB10_76:                              ;   in Loop: Header=BB10_79 Depth=2
	s_or_b32 exec_lo, exec_lo, s1
	s_delay_alu instid0(VALU_DEP_1) | instskip(NEXT) | instid1(VALU_DEP_1)
	v_readfirstlane_b32 s1, v2
	s_cmp_eq_u32 s1, 0
	s_cbranch_scc1 .LBB10_78
; %bb.77:                               ;   in Loop: Header=BB10_79 Depth=2
	s_sleep 1
	s_cbranch_execnz .LBB10_79
	s_branch .LBB10_81
	.p2align	6
.LBB10_78:                              ;   in Loop: Header=BB10_3 Depth=1
	s_branch .LBB10_81
.LBB10_79:                              ;   Parent Loop BB10_3 Depth=1
                                        ; =>  This Inner Loop Header: Depth=2
	v_mov_b32_e32 v2, 1
	s_and_saveexec_b32 s1, s0
	s_cbranch_execz .LBB10_76
; %bb.80:                               ;   in Loop: Header=BB10_79 Depth=2
	global_load_b32 v2, v[31:32], off offset:20 glc
	s_waitcnt vmcnt(0)
	buffer_gl1_inv
	buffer_gl0_inv
	v_and_b32_e32 v2, 1, v2
	s_branch .LBB10_76
.LBB10_81:                              ;   in Loop: Header=BB10_3 Depth=1
	global_load_b128 v[0:3], v[0:1], off
	s_and_saveexec_b32 s1, s0
	s_cbranch_execz .LBB10_2
; %bb.82:                               ;   in Loop: Header=BB10_3 Depth=1
	s_clause 0x2
	global_load_b64 v[2:3], v10, s[2:3] offset:40
	global_load_b64 v[17:18], v10, s[2:3] offset:24 glc
	global_load_b64 v[15:16], v10, s[2:3]
	s_waitcnt vmcnt(2)
	v_add_co_u32 v9, vcc_lo, v2, 1
	v_add_co_ci_u32_e32 v19, vcc_lo, 0, v3, vcc_lo
	s_delay_alu instid0(VALU_DEP_2) | instskip(NEXT) | instid1(VALU_DEP_2)
	v_add_co_u32 v13, vcc_lo, v9, s4
	v_add_co_ci_u32_e32 v14, vcc_lo, s5, v19, vcc_lo
	s_delay_alu instid0(VALU_DEP_1) | instskip(SKIP_1) | instid1(VALU_DEP_1)
	v_cmp_eq_u64_e32 vcc_lo, 0, v[13:14]
	v_dual_cndmask_b32 v14, v14, v19 :: v_dual_cndmask_b32 v13, v13, v9
	v_and_b32_e32 v3, v14, v3
	s_delay_alu instid0(VALU_DEP_2) | instskip(NEXT) | instid1(VALU_DEP_2)
	v_and_b32_e32 v2, v13, v2
	v_mul_lo_u32 v3, v3, 24
	s_delay_alu instid0(VALU_DEP_2) | instskip(SKIP_1) | instid1(VALU_DEP_2)
	v_mul_hi_u32 v9, v2, 24
	v_mul_lo_u32 v2, v2, 24
	v_add_nc_u32_e32 v3, v9, v3
	s_waitcnt vmcnt(0)
	s_delay_alu instid0(VALU_DEP_2) | instskip(SKIP_1) | instid1(VALU_DEP_3)
	v_add_co_u32 v2, vcc_lo, v15, v2
	v_mov_b32_e32 v15, v17
	v_add_co_ci_u32_e32 v3, vcc_lo, v16, v3, vcc_lo
	v_mov_b32_e32 v16, v18
	global_store_b64 v[2:3], v[17:18], off
	s_waitcnt_vscnt null, 0x0
	global_atomic_cmpswap_b64 v[15:16], v10, v[13:16], s[2:3] offset:24 glc
	s_waitcnt vmcnt(0)
	v_cmp_ne_u64_e32 vcc_lo, v[15:16], v[17:18]
	s_and_b32 exec_lo, exec_lo, vcc_lo
	s_cbranch_execz .LBB10_2
; %bb.83:                               ;   in Loop: Header=BB10_3 Depth=1
	s_mov_b32 s0, 0
.LBB10_84:                              ;   Parent Loop BB10_3 Depth=1
                                        ; =>  This Inner Loop Header: Depth=2
	s_sleep 1
	global_store_b64 v[2:3], v[15:16], off
	s_waitcnt_vscnt null, 0x0
	global_atomic_cmpswap_b64 v[17:18], v10, v[13:16], s[2:3] offset:24 glc
	s_waitcnt vmcnt(0)
	v_cmp_eq_u64_e32 vcc_lo, v[17:18], v[15:16]
	v_dual_mov_b32 v15, v17 :: v_dual_mov_b32 v16, v18
	s_or_b32 s0, vcc_lo, s0
	s_delay_alu instid0(SALU_CYCLE_1)
	s_and_not1_b32 exec_lo, exec_lo, s0
	s_cbranch_execnz .LBB10_84
	s_branch .LBB10_2
.LBB10_85:
	s_or_b32 exec_lo, exec_lo, s12
                                        ; implicit-def: $vgpr0
                                        ; implicit-def: $vgpr33
                                        ; implicit-def: $vgpr1
.LBB10_86:
	s_and_not1_saveexec_b32 s1, s10
	s_cbranch_execz .LBB10_108
; %bb.87:
	s_load_b64 s[2:3], s[8:9], 0x50
	v_readfirstlane_b32 s0, v33
	v_mov_b32_e32 v8, 0
	v_mov_b32_e32 v9, 0
	s_delay_alu instid0(VALU_DEP_3) | instskip(NEXT) | instid1(VALU_DEP_1)
	v_cmp_eq_u32_e64 s0, s0, v33
	s_and_saveexec_b32 s4, s0
	s_cbranch_execz .LBB10_93
; %bb.88:
	s_waitcnt vmcnt(0)
	v_mov_b32_e32 v2, 0
	s_mov_b32 s5, exec_lo
	s_waitcnt lgkmcnt(0)
	global_load_b64 v[5:6], v2, s[2:3] offset:24 glc
	s_waitcnt vmcnt(0)
	buffer_gl1_inv
	buffer_gl0_inv
	s_clause 0x1
	global_load_b64 v[3:4], v2, s[2:3] offset:40
	global_load_b64 v[7:8], v2, s[2:3]
	s_waitcnt vmcnt(1)
	v_and_b32_e32 v3, v3, v5
	v_and_b32_e32 v4, v4, v6
	s_delay_alu instid0(VALU_DEP_2) | instskip(NEXT) | instid1(VALU_DEP_2)
	v_mul_hi_u32 v9, v3, 24
	v_mul_lo_u32 v4, v4, 24
	v_mul_lo_u32 v3, v3, 24
	s_delay_alu instid0(VALU_DEP_2) | instskip(SKIP_1) | instid1(VALU_DEP_2)
	v_add_nc_u32_e32 v4, v9, v4
	s_waitcnt vmcnt(0)
	v_add_co_u32 v3, vcc_lo, v7, v3
	s_delay_alu instid0(VALU_DEP_2)
	v_add_co_ci_u32_e32 v4, vcc_lo, v8, v4, vcc_lo
	global_load_b64 v[3:4], v[3:4], off glc
	s_waitcnt vmcnt(0)
	global_atomic_cmpswap_b64 v[8:9], v2, v[3:6], s[2:3] offset:24 glc
	s_waitcnt vmcnt(0)
	buffer_gl1_inv
	buffer_gl0_inv
	v_cmpx_ne_u64_e64 v[8:9], v[5:6]
	s_cbranch_execz .LBB10_92
; %bb.89:
	s_mov_b32 s6, 0
	.p2align	6
.LBB10_90:                              ; =>This Inner Loop Header: Depth=1
	s_sleep 1
	s_clause 0x1
	global_load_b64 v[3:4], v2, s[2:3] offset:40
	global_load_b64 v[10:11], v2, s[2:3]
	v_dual_mov_b32 v5, v8 :: v_dual_mov_b32 v6, v9
	s_waitcnt vmcnt(1)
	s_delay_alu instid0(VALU_DEP_1) | instskip(NEXT) | instid1(VALU_DEP_2)
	v_and_b32_e32 v3, v3, v5
	v_and_b32_e32 v4, v4, v6
	s_waitcnt vmcnt(0)
	s_delay_alu instid0(VALU_DEP_2) | instskip(NEXT) | instid1(VALU_DEP_1)
	v_mad_u64_u32 v[7:8], null, v3, 24, v[10:11]
	v_mov_b32_e32 v3, v8
	s_delay_alu instid0(VALU_DEP_1)
	v_mad_u64_u32 v[8:9], null, v4, 24, v[3:4]
	global_load_b64 v[3:4], v[7:8], off glc
	s_waitcnt vmcnt(0)
	global_atomic_cmpswap_b64 v[8:9], v2, v[3:6], s[2:3] offset:24 glc
	s_waitcnt vmcnt(0)
	buffer_gl1_inv
	buffer_gl0_inv
	v_cmp_eq_u64_e32 vcc_lo, v[8:9], v[5:6]
	s_or_b32 s6, vcc_lo, s6
	s_delay_alu instid0(SALU_CYCLE_1)
	s_and_not1_b32 exec_lo, exec_lo, s6
	s_cbranch_execnz .LBB10_90
; %bb.91:
	s_or_b32 exec_lo, exec_lo, s6
.LBB10_92:
	s_delay_alu instid0(SALU_CYCLE_1)
	s_or_b32 exec_lo, exec_lo, s5
.LBB10_93:
	s_delay_alu instid0(SALU_CYCLE_1)
	s_or_b32 exec_lo, exec_lo, s4
	s_waitcnt vmcnt(0)
	v_mov_b32_e32 v2, 0
	v_readfirstlane_b32 s4, v8
	v_readfirstlane_b32 s5, v9
	s_mov_b32 s8, exec_lo
	s_waitcnt lgkmcnt(0)
	s_clause 0x1
	global_load_b64 v[10:11], v2, s[2:3] offset:40
	global_load_b128 v[4:7], v2, s[2:3]
	s_waitcnt vmcnt(1)
	v_readfirstlane_b32 s6, v10
	v_readfirstlane_b32 s7, v11
	s_delay_alu instid0(VALU_DEP_1) | instskip(NEXT) | instid1(SALU_CYCLE_1)
	s_and_b64 s[6:7], s[4:5], s[6:7]
	s_mul_i32 s9, s7, 24
	s_mul_hi_u32 s10, s6, 24
	s_mul_i32 s11, s6, 24
	s_add_i32 s10, s10, s9
	s_waitcnt vmcnt(0)
	v_add_co_u32 v8, vcc_lo, v4, s11
	v_add_co_ci_u32_e32 v9, vcc_lo, s10, v5, vcc_lo
	s_and_saveexec_b32 s9, s0
	s_cbranch_execz .LBB10_95
; %bb.94:
	v_dual_mov_b32 v10, s8 :: v_dual_mov_b32 v11, v2
	v_dual_mov_b32 v12, 2 :: v_dual_mov_b32 v13, 1
	global_store_b128 v[8:9], v[10:13], off offset:8
.LBB10_95:
	s_or_b32 exec_lo, exec_lo, s9
	s_lshl_b64 s[6:7], s[6:7], 12
	s_mov_b32 s8, 0
	v_add_co_u32 v6, vcc_lo, v6, s6
	v_add_co_ci_u32_e32 v7, vcc_lo, s7, v7, vcc_lo
	s_mov_b32 s11, s8
	s_mov_b32 s9, s8
	;; [unrolled: 1-line block ×3, first 2 shown]
	v_and_or_b32 v0, 0xffffff1f, v0, 32
	v_dual_mov_b32 v3, v2 :: v_dual_lshlrev_b32 v14, 6, v33
	v_readfirstlane_b32 s6, v6
	v_readfirstlane_b32 s7, v7
	v_dual_mov_b32 v13, s11 :: v_dual_mov_b32 v12, s10
	v_dual_mov_b32 v11, s9 :: v_dual_mov_b32 v10, s8
	s_clause 0x3
	global_store_b128 v14, v[0:3], s[6:7]
	global_store_b128 v14, v[10:13], s[6:7] offset:16
	global_store_b128 v14, v[10:13], s[6:7] offset:32
	;; [unrolled: 1-line block ×3, first 2 shown]
	s_and_saveexec_b32 s6, s0
	s_cbranch_execz .LBB10_102
; %bb.96:
	v_mov_b32_e32 v6, 0
	s_mov_b32 s7, exec_lo
	s_clause 0x1
	global_load_b64 v[12:13], v6, s[2:3] offset:32 glc
	global_load_b64 v[0:1], v6, s[2:3] offset:40
	v_dual_mov_b32 v11, s5 :: v_dual_mov_b32 v10, s4
	s_waitcnt vmcnt(0)
	v_and_b32_e32 v1, s5, v1
	v_and_b32_e32 v0, s4, v0
	s_delay_alu instid0(VALU_DEP_2) | instskip(NEXT) | instid1(VALU_DEP_2)
	v_mul_lo_u32 v1, v1, 24
	v_mul_hi_u32 v2, v0, 24
	v_mul_lo_u32 v0, v0, 24
	s_delay_alu instid0(VALU_DEP_2) | instskip(NEXT) | instid1(VALU_DEP_2)
	v_add_nc_u32_e32 v1, v2, v1
	v_add_co_u32 v4, vcc_lo, v4, v0
	s_delay_alu instid0(VALU_DEP_2)
	v_add_co_ci_u32_e32 v5, vcc_lo, v5, v1, vcc_lo
	global_store_b64 v[4:5], v[12:13], off
	s_waitcnt_vscnt null, 0x0
	global_atomic_cmpswap_b64 v[2:3], v6, v[10:13], s[2:3] offset:32 glc
	s_waitcnt vmcnt(0)
	v_cmpx_ne_u64_e64 v[2:3], v[12:13]
	s_cbranch_execz .LBB10_98
.LBB10_97:                              ; =>This Inner Loop Header: Depth=1
	v_dual_mov_b32 v0, s4 :: v_dual_mov_b32 v1, s5
	s_sleep 1
	global_store_b64 v[4:5], v[2:3], off
	s_waitcnt_vscnt null, 0x0
	global_atomic_cmpswap_b64 v[0:1], v6, v[0:3], s[2:3] offset:32 glc
	s_waitcnt vmcnt(0)
	v_cmp_eq_u64_e32 vcc_lo, v[0:1], v[2:3]
	v_dual_mov_b32 v3, v1 :: v_dual_mov_b32 v2, v0
	s_or_b32 s8, vcc_lo, s8
	s_delay_alu instid0(SALU_CYCLE_1)
	s_and_not1_b32 exec_lo, exec_lo, s8
	s_cbranch_execnz .LBB10_97
.LBB10_98:
	s_or_b32 exec_lo, exec_lo, s7
	v_mov_b32_e32 v3, 0
	s_mov_b32 s8, exec_lo
	s_mov_b32 s7, exec_lo
	v_mbcnt_lo_u32_b32 v2, s8, 0
	global_load_b64 v[0:1], v3, s[2:3] offset:16
	v_cmpx_eq_u32_e32 0, v2
	s_cbranch_execz .LBB10_100
; %bb.99:
	s_bcnt1_i32_b32 s8, s8
	s_delay_alu instid0(SALU_CYCLE_1)
	v_mov_b32_e32 v2, s8
	s_waitcnt vmcnt(0)
	global_atomic_add_u64 v[0:1], v[2:3], off offset:8
.LBB10_100:
	s_or_b32 exec_lo, exec_lo, s7
	s_waitcnt vmcnt(0)
	global_load_b64 v[2:3], v[0:1], off offset:16
	s_waitcnt vmcnt(0)
	v_cmp_eq_u64_e32 vcc_lo, 0, v[2:3]
	s_cbranch_vccnz .LBB10_102
; %bb.101:
	global_load_b32 v0, v[0:1], off offset:24
	s_waitcnt vmcnt(0)
	v_dual_mov_b32 v1, 0 :: v_dual_and_b32 v4, 0xffffff, v0
	s_waitcnt_vscnt null, 0x0
	global_store_b64 v[2:3], v[0:1], off
	v_readfirstlane_b32 m0, v4
	s_sendmsg sendmsg(MSG_INTERRUPT)
.LBB10_102:
	s_or_b32 exec_lo, exec_lo, s6
	s_branch .LBB10_106
	.p2align	6
.LBB10_103:                             ;   in Loop: Header=BB10_106 Depth=1
	s_or_b32 exec_lo, exec_lo, s6
	s_delay_alu instid0(VALU_DEP_1) | instskip(NEXT) | instid1(VALU_DEP_1)
	v_readfirstlane_b32 s6, v0
	s_cmp_eq_u32 s6, 0
	s_cbranch_scc1 .LBB10_105
; %bb.104:                              ;   in Loop: Header=BB10_106 Depth=1
	s_sleep 1
	s_cbranch_execnz .LBB10_106
	s_branch .LBB10_109
	.p2align	6
.LBB10_105:
	s_branch .LBB10_109
.LBB10_106:                             ; =>This Inner Loop Header: Depth=1
	v_mov_b32_e32 v0, 1
	s_and_saveexec_b32 s6, s0
	s_cbranch_execz .LBB10_103
; %bb.107:                              ;   in Loop: Header=BB10_106 Depth=1
	global_load_b32 v0, v[8:9], off offset:20 glc
	s_waitcnt vmcnt(0)
	buffer_gl1_inv
	buffer_gl0_inv
	v_and_b32_e32 v0, 1, v0
	s_branch .LBB10_103
.LBB10_108:
	s_or_b32 exec_lo, exec_lo, s1
	s_waitcnt vmcnt(0) lgkmcnt(0)
	s_setpc_b64 s[30:31]
.LBB10_109:
	s_and_saveexec_b32 s6, s0
	s_cbranch_execz .LBB10_113
; %bb.110:
	v_mov_b32_e32 v6, 0
	s_clause 0x2
	global_load_b64 v[2:3], v6, s[2:3] offset:40
	global_load_b64 v[7:8], v6, s[2:3] offset:24 glc
	global_load_b64 v[4:5], v6, s[2:3]
	s_waitcnt vmcnt(2)
	v_add_co_u32 v9, vcc_lo, v2, 1
	v_add_co_ci_u32_e32 v10, vcc_lo, 0, v3, vcc_lo
	s_delay_alu instid0(VALU_DEP_2) | instskip(NEXT) | instid1(VALU_DEP_2)
	v_add_co_u32 v0, vcc_lo, v9, s4
	v_add_co_ci_u32_e32 v1, vcc_lo, s5, v10, vcc_lo
	s_delay_alu instid0(VALU_DEP_1) | instskip(SKIP_1) | instid1(VALU_DEP_1)
	v_cmp_eq_u64_e32 vcc_lo, 0, v[0:1]
	v_dual_cndmask_b32 v1, v1, v10 :: v_dual_cndmask_b32 v0, v0, v9
	v_and_b32_e32 v3, v1, v3
	s_delay_alu instid0(VALU_DEP_2) | instskip(NEXT) | instid1(VALU_DEP_2)
	v_and_b32_e32 v2, v0, v2
	v_mul_lo_u32 v3, v3, 24
	s_delay_alu instid0(VALU_DEP_2) | instskip(SKIP_1) | instid1(VALU_DEP_2)
	v_mul_hi_u32 v9, v2, 24
	v_mul_lo_u32 v2, v2, 24
	v_add_nc_u32_e32 v3, v9, v3
	s_waitcnt vmcnt(0)
	s_delay_alu instid0(VALU_DEP_2) | instskip(SKIP_1) | instid1(VALU_DEP_3)
	v_add_co_u32 v4, vcc_lo, v4, v2
	v_mov_b32_e32 v2, v7
	v_add_co_ci_u32_e32 v5, vcc_lo, v5, v3, vcc_lo
	v_mov_b32_e32 v3, v8
	global_store_b64 v[4:5], v[7:8], off
	s_waitcnt_vscnt null, 0x0
	global_atomic_cmpswap_b64 v[2:3], v6, v[0:3], s[2:3] offset:24 glc
	s_waitcnt vmcnt(0)
	v_cmp_ne_u64_e32 vcc_lo, v[2:3], v[7:8]
	s_and_b32 exec_lo, exec_lo, vcc_lo
	s_cbranch_execz .LBB10_113
; %bb.111:
	s_mov_b32 s0, 0
.LBB10_112:                             ; =>This Inner Loop Header: Depth=1
	s_sleep 1
	global_store_b64 v[4:5], v[2:3], off
	s_waitcnt_vscnt null, 0x0
	global_atomic_cmpswap_b64 v[7:8], v6, v[0:3], s[2:3] offset:24 glc
	s_waitcnt vmcnt(0)
	v_cmp_eq_u64_e32 vcc_lo, v[7:8], v[2:3]
	v_dual_mov_b32 v2, v7 :: v_dual_mov_b32 v3, v8
	s_or_b32 s0, vcc_lo, s0
	s_delay_alu instid0(SALU_CYCLE_1)
	s_and_not1_b32 exec_lo, exec_lo, s0
	s_cbranch_execnz .LBB10_112
.LBB10_113:
	s_or_b32 exec_lo, exec_lo, s6
	s_delay_alu instid0(SALU_CYCLE_1)
	s_or_b32 exec_lo, exec_lo, s1
	s_waitcnt lgkmcnt(0)
	s_setpc_b64 s[30:31]
.Lfunc_end10:
	.size	__ockl_fprintf_append_string_n, .Lfunc_end10-__ockl_fprintf_append_string_n
                                        ; -- End function
	.section	.AMDGPU.csdata,"",@progbits
; Function info:
; codeLenInByte = 4740
; NumSgprs: 34
; NumVgprs: 36
; ScratchSize: 0
; MemoryBound: 0
	.text
	.p2align	2                               ; -- Begin function __assert_fail
	.type	__assert_fail,@function
__assert_fail:                          ; @__assert_fail
; %bb.0:
	s_waitcnt vmcnt(0) expcnt(0) lgkmcnt(0)
	s_mov_b32 s20, s33
	s_mov_b32 s33, s32
	s_or_saveexec_b32 s0, -1
	scratch_store_b32 off, v40, s33 offset:48 ; 4-byte Folded Spill
	s_mov_b32 exec_lo, s0
	v_writelane_b32 v40, s30, 0
	s_add_i32 s32, s32, 64
	v_writelane_b32 v40, s31, 1
	s_getpc_b64 s[0:1]
	s_add_u32 s0, s0, __const.__assert_fail.fmt@rel32@lo+4
	s_addc_u32 s1, s1, __const.__assert_fail.fmt@rel32@hi+12
	s_getpc_b64 s[2:3]
	s_add_u32 s2, s2, __const.__assert_fail.fmt@rel32@lo+20
	s_addc_u32 s3, s3, __const.__assert_fail.fmt@rel32@hi+28
	v_mbcnt_lo_u32_b32 v37, -1, 0
	s_clause 0x1
	s_load_b128 s[4:7], s[0:1], 0x0
	s_load_b128 s[12:15], s[2:3], 0x0
	s_load_b64 s[2:3], s[8:9], 0x50
	v_dual_mov_b32 v5, v2 :: v_dual_mov_b32 v4, v1
	v_mov_b32_e32 v1, 0
	v_readfirstlane_b32 s0, v37
	v_dual_mov_b32 v3, 0 :: v_dual_mov_b32 v14, 0x73256020
	v_mov_b32_e32 v17, 0xa2e
	v_mov_b32_e32 v15, 0x61662027
	s_delay_alu instid0(VALU_DEP_4)
	v_cmp_eq_u32_e64 s0, s0, v37
	v_mov_b32_e32 v2, 0
	s_waitcnt lgkmcnt(0)
	v_dual_mov_b32 v16, 0x64656c69 :: v_dual_mov_b32 v9, s7
	v_mov_b32_e32 v10, s12
	v_dual_mov_b32 v8, s6 :: v_dual_mov_b32 v7, s5
	v_mov_b32_e32 v12, s14
	v_dual_mov_b32 v6, s4 :: v_dual_mov_b32 v13, s15
	v_mov_b32_e32 v11, s13
	s_clause 0x4
	scratch_store_b128 off, v[6:9], s33
	scratch_store_b128 off, v[10:13], s33 offset:16
	scratch_store_b8 off, v3, s33 offset:46
	scratch_store_b16 off, v17, s33 offset:44
	scratch_store_b96 off, v[14:16], s33 offset:32
	s_and_saveexec_b32 s1, s0
	s_cbranch_execz .LBB11_6
; %bb.1:
	global_load_b64 v[8:9], v3, s[2:3] offset:24 glc
	s_waitcnt vmcnt(0)
	buffer_gl1_inv
	buffer_gl0_inv
	s_clause 0x1
	global_load_b64 v[1:2], v3, s[2:3] offset:40
	global_load_b64 v[6:7], v3, s[2:3]
	s_mov_b32 s4, exec_lo
	s_waitcnt vmcnt(1)
	v_and_b32_e32 v2, v2, v9
	v_and_b32_e32 v1, v1, v8
	s_delay_alu instid0(VALU_DEP_2) | instskip(NEXT) | instid1(VALU_DEP_2)
	v_mul_lo_u32 v2, v2, 24
	v_mul_hi_u32 v10, v1, 24
	v_mul_lo_u32 v1, v1, 24
	s_delay_alu instid0(VALU_DEP_2) | instskip(SKIP_1) | instid1(VALU_DEP_2)
	v_add_nc_u32_e32 v2, v10, v2
	s_waitcnt vmcnt(0)
	v_add_co_u32 v1, vcc_lo, v6, v1
	s_delay_alu instid0(VALU_DEP_2)
	v_add_co_ci_u32_e32 v2, vcc_lo, v7, v2, vcc_lo
	global_load_b64 v[6:7], v[1:2], off glc
	s_waitcnt vmcnt(0)
	global_atomic_cmpswap_b64 v[1:2], v3, v[6:9], s[2:3] offset:24 glc
	s_waitcnt vmcnt(0)
	buffer_gl1_inv
	buffer_gl0_inv
	v_cmpx_ne_u64_e64 v[1:2], v[8:9]
	s_cbranch_execz .LBB11_5
; %bb.2:
	s_mov_b32 s5, 0
	.p2align	6
.LBB11_3:                               ; =>This Inner Loop Header: Depth=1
	s_sleep 1
	s_clause 0x1
	global_load_b64 v[6:7], v3, s[2:3] offset:40
	global_load_b64 v[10:11], v3, s[2:3]
	v_dual_mov_b32 v9, v2 :: v_dual_mov_b32 v8, v1
	s_waitcnt vmcnt(1)
	s_delay_alu instid0(VALU_DEP_1) | instskip(SKIP_1) | instid1(VALU_DEP_1)
	v_and_b32_e32 v6, v6, v8
	s_waitcnt vmcnt(0)
	v_mad_u64_u32 v[1:2], null, v6, 24, v[10:11]
	v_and_b32_e32 v10, v7, v9
	s_delay_alu instid0(VALU_DEP_1) | instskip(NEXT) | instid1(VALU_DEP_1)
	v_mad_u64_u32 v[6:7], null, v10, 24, v[2:3]
	v_mov_b32_e32 v2, v6
	global_load_b64 v[6:7], v[1:2], off glc
	s_waitcnt vmcnt(0)
	global_atomic_cmpswap_b64 v[1:2], v3, v[6:9], s[2:3] offset:24 glc
	s_waitcnt vmcnt(0)
	buffer_gl1_inv
	buffer_gl0_inv
	v_cmp_eq_u64_e32 vcc_lo, v[1:2], v[8:9]
	s_or_b32 s5, vcc_lo, s5
	s_delay_alu instid0(SALU_CYCLE_1)
	s_and_not1_b32 exec_lo, exec_lo, s5
	s_cbranch_execnz .LBB11_3
; %bb.4:
	s_or_b32 exec_lo, exec_lo, s5
.LBB11_5:
	s_delay_alu instid0(SALU_CYCLE_1)
	s_or_b32 exec_lo, exec_lo, s4
.LBB11_6:
	s_delay_alu instid0(SALU_CYCLE_1)
	s_or_b32 exec_lo, exec_lo, s1
	s_clause 0x1
	global_load_b64 v[6:7], v3, s[2:3] offset:40
	global_load_b128 v[10:13], v3, s[2:3]
	v_readfirstlane_b32 s4, v1
	v_readfirstlane_b32 s5, v2
	s_mov_b32 s1, exec_lo
	s_waitcnt vmcnt(1)
	v_readfirstlane_b32 s6, v6
	v_readfirstlane_b32 s7, v7
	s_delay_alu instid0(VALU_DEP_1) | instskip(NEXT) | instid1(SALU_CYCLE_1)
	s_and_b64 s[6:7], s[4:5], s[6:7]
	s_mul_i32 s10, s7, 24
	s_mul_hi_u32 s11, s6, 24
	s_mul_i32 s12, s6, 24
	s_add_i32 s11, s11, s10
	s_waitcnt vmcnt(0)
	v_add_co_u32 v1, vcc_lo, v10, s12
	v_add_co_ci_u32_e32 v2, vcc_lo, s11, v11, vcc_lo
	s_and_saveexec_b32 s10, s0
	s_cbranch_execz .LBB11_8
; %bb.7:
	v_dual_mov_b32 v6, s1 :: v_dual_mov_b32 v7, 0
	v_dual_mov_b32 v8, 2 :: v_dual_mov_b32 v9, 1
	global_store_b128 v[1:2], v[6:9], off offset:8
.LBB11_8:
	s_or_b32 exec_lo, exec_lo, s10
	s_lshl_b64 s[6:7], s[6:7], 12
	v_dual_mov_b32 v7, 0 :: v_dual_lshlrev_b32 v36, 6, v37
	v_add_co_u32 v3, vcc_lo, v12, s6
	v_add_co_ci_u32_e32 v13, vcc_lo, s7, v13, vcc_lo
	s_mov_b32 s12, 0
	s_delay_alu instid0(VALU_DEP_2)
	v_add_co_u32 v12, vcc_lo, v3, v36
	s_mov_b32 s15, s12
	s_mov_b32 s13, s12
	;; [unrolled: 1-line block ×3, first 2 shown]
	v_dual_mov_b32 v6, 33 :: v_dual_mov_b32 v9, v7
	v_dual_mov_b32 v8, 1 :: v_dual_mov_b32 v17, s15
	v_readfirstlane_b32 s6, v3
	v_readfirstlane_b32 s7, v13
	v_add_co_ci_u32_e32 v13, vcc_lo, 0, v13, vcc_lo
	v_dual_mov_b32 v16, s14 :: v_dual_mov_b32 v15, s13
	v_mov_b32_e32 v14, s12
	s_clause 0x3
	global_store_b128 v36, v[6:9], s[6:7]
	global_store_b128 v36, v[14:17], s[6:7] offset:16
	global_store_b128 v36, v[14:17], s[6:7] offset:32
	;; [unrolled: 1-line block ×3, first 2 shown]
	s_and_saveexec_b32 s1, s0
	s_cbranch_execz .LBB11_16
; %bb.9:
	s_clause 0x1
	global_load_b64 v[18:19], v7, s[2:3] offset:32 glc
	global_load_b64 v[8:9], v7, s[2:3] offset:40
	s_mov_b32 s6, exec_lo
	v_dual_mov_b32 v16, s4 :: v_dual_mov_b32 v17, s5
	s_waitcnt vmcnt(0)
	v_and_b32_e32 v3, s5, v9
	v_and_b32_e32 v6, s4, v8
	s_delay_alu instid0(VALU_DEP_2) | instskip(NEXT) | instid1(VALU_DEP_2)
	v_mul_lo_u32 v3, v3, 24
	v_mul_hi_u32 v8, v6, 24
	v_mul_lo_u32 v6, v6, 24
	s_delay_alu instid0(VALU_DEP_2) | instskip(NEXT) | instid1(VALU_DEP_2)
	v_add_nc_u32_e32 v3, v8, v3
	v_add_co_u32 v14, vcc_lo, v10, v6
	s_delay_alu instid0(VALU_DEP_2)
	v_add_co_ci_u32_e32 v15, vcc_lo, v11, v3, vcc_lo
	global_store_b64 v[14:15], v[18:19], off
	s_waitcnt_vscnt null, 0x0
	global_atomic_cmpswap_b64 v[10:11], v7, v[16:19], s[2:3] offset:32 glc
	s_waitcnt vmcnt(0)
	v_cmpx_ne_u64_e64 v[10:11], v[18:19]
	s_cbranch_execz .LBB11_12
; %bb.10:
	s_mov_b32 s7, 0
.LBB11_11:                              ; =>This Inner Loop Header: Depth=1
	v_dual_mov_b32 v8, s4 :: v_dual_mov_b32 v9, s5
	s_sleep 1
	global_store_b64 v[14:15], v[10:11], off
	s_waitcnt_vscnt null, 0x0
	global_atomic_cmpswap_b64 v[8:9], v7, v[8:11], s[2:3] offset:32 glc
	s_waitcnt vmcnt(0)
	v_cmp_eq_u64_e32 vcc_lo, v[8:9], v[10:11]
	v_dual_mov_b32 v11, v9 :: v_dual_mov_b32 v10, v8
	s_or_b32 s7, vcc_lo, s7
	s_delay_alu instid0(SALU_CYCLE_1)
	s_and_not1_b32 exec_lo, exec_lo, s7
	s_cbranch_execnz .LBB11_11
.LBB11_12:
	s_or_b32 exec_lo, exec_lo, s6
	v_mov_b32_e32 v9, 0
	s_mov_b32 s7, exec_lo
	s_mov_b32 s6, exec_lo
	v_mbcnt_lo_u32_b32 v3, s7, 0
	global_load_b64 v[6:7], v9, s[2:3] offset:16
	v_cmpx_eq_u32_e32 0, v3
	s_cbranch_execz .LBB11_14
; %bb.13:
	s_bcnt1_i32_b32 s7, s7
	s_delay_alu instid0(SALU_CYCLE_1)
	v_mov_b32_e32 v8, s7
	s_waitcnt vmcnt(0)
	global_atomic_add_u64 v[6:7], v[8:9], off offset:8
.LBB11_14:
	s_or_b32 exec_lo, exec_lo, s6
	s_waitcnt vmcnt(0)
	global_load_b64 v[8:9], v[6:7], off offset:16
	s_waitcnt vmcnt(0)
	v_cmp_eq_u64_e32 vcc_lo, 0, v[8:9]
	s_cbranch_vccnz .LBB11_16
; %bb.15:
	global_load_b32 v6, v[6:7], off offset:24
	v_mov_b32_e32 v7, 0
	s_waitcnt vmcnt(0)
	v_and_b32_e32 v3, 0xffffff, v6
	s_waitcnt_vscnt null, 0x0
	global_store_b64 v[8:9], v[6:7], off
	v_readfirstlane_b32 m0, v3
	s_sendmsg sendmsg(MSG_INTERRUPT)
.LBB11_16:
	s_or_b32 exec_lo, exec_lo, s1
	s_branch .LBB11_20
	.p2align	6
.LBB11_17:                              ;   in Loop: Header=BB11_20 Depth=1
	s_or_b32 exec_lo, exec_lo, s1
	s_delay_alu instid0(VALU_DEP_1) | instskip(NEXT) | instid1(VALU_DEP_1)
	v_readfirstlane_b32 s1, v3
	s_cmp_eq_u32 s1, 0
	s_cbranch_scc1 .LBB11_19
; %bb.18:                               ;   in Loop: Header=BB11_20 Depth=1
	s_sleep 1
	s_cbranch_execnz .LBB11_20
	s_branch .LBB11_22
	.p2align	6
.LBB11_19:
	s_branch .LBB11_22
.LBB11_20:                              ; =>This Inner Loop Header: Depth=1
	v_mov_b32_e32 v3, 1
	s_and_saveexec_b32 s1, s0
	s_cbranch_execz .LBB11_17
; %bb.21:                               ;   in Loop: Header=BB11_20 Depth=1
	global_load_b32 v3, v[1:2], off offset:20 glc
	s_waitcnt vmcnt(0)
	buffer_gl1_inv
	buffer_gl0_inv
	v_and_b32_e32 v3, 1, v3
	s_branch .LBB11_17
.LBB11_22:
	global_load_b64 v[10:11], v[12:13], off
	s_and_saveexec_b32 s1, s0
	s_cbranch_execz .LBB11_26
; %bb.23:
	v_mov_b32_e32 v3, 0
	s_clause 0x2
	global_load_b64 v[1:2], v3, s[2:3] offset:40
	global_load_b64 v[12:13], v3, s[2:3] offset:24 glc
	global_load_b64 v[8:9], v3, s[2:3]
	s_waitcnt vmcnt(2)
	v_add_co_u32 v14, vcc_lo, v1, 1
	v_add_co_ci_u32_e32 v15, vcc_lo, 0, v2, vcc_lo
	s_delay_alu instid0(VALU_DEP_2) | instskip(NEXT) | instid1(VALU_DEP_2)
	v_add_co_u32 v6, vcc_lo, v14, s4
	v_add_co_ci_u32_e32 v7, vcc_lo, s5, v15, vcc_lo
	s_delay_alu instid0(VALU_DEP_1) | instskip(SKIP_1) | instid1(VALU_DEP_1)
	v_cmp_eq_u64_e32 vcc_lo, 0, v[6:7]
	v_cndmask_b32_e32 v6, v6, v14, vcc_lo
	v_and_b32_e32 v1, v6, v1
	s_delay_alu instid0(VALU_DEP_1) | instskip(SKIP_2) | instid1(VALU_DEP_2)
	v_mul_hi_u32 v14, v1, 24
	v_cndmask_b32_e32 v7, v7, v15, vcc_lo
	v_mul_lo_u32 v1, v1, 24
	v_and_b32_e32 v2, v7, v2
	s_waitcnt vmcnt(0)
	s_delay_alu instid0(VALU_DEP_2) | instskip(NEXT) | instid1(VALU_DEP_2)
	v_add_co_u32 v1, vcc_lo, v8, v1
	v_mul_lo_u32 v2, v2, 24
	v_mov_b32_e32 v8, v12
	s_delay_alu instid0(VALU_DEP_2) | instskip(NEXT) | instid1(VALU_DEP_1)
	v_add_nc_u32_e32 v2, v14, v2
	v_add_co_ci_u32_e32 v2, vcc_lo, v9, v2, vcc_lo
	v_mov_b32_e32 v9, v13
	global_store_b64 v[1:2], v[12:13], off
	s_waitcnt_vscnt null, 0x0
	global_atomic_cmpswap_b64 v[8:9], v3, v[6:9], s[2:3] offset:24 glc
	s_waitcnt vmcnt(0)
	v_cmp_ne_u64_e32 vcc_lo, v[8:9], v[12:13]
	s_and_b32 exec_lo, exec_lo, vcc_lo
	s_cbranch_execz .LBB11_26
; %bb.24:
	s_mov_b32 s0, 0
.LBB11_25:                              ; =>This Inner Loop Header: Depth=1
	s_sleep 1
	global_store_b64 v[1:2], v[8:9], off
	s_waitcnt_vscnt null, 0x0
	global_atomic_cmpswap_b64 v[12:13], v3, v[6:9], s[2:3] offset:24 glc
	s_waitcnt vmcnt(0)
	v_cmp_eq_u64_e32 vcc_lo, v[12:13], v[8:9]
	v_dual_mov_b32 v8, v12 :: v_dual_mov_b32 v9, v13
	s_or_b32 s0, vcc_lo, s0
	s_delay_alu instid0(SALU_CYCLE_1)
	s_and_not1_b32 exec_lo, exec_lo, s0
	s_cbranch_execnz .LBB11_25
.LBB11_26:
	s_or_b32 exec_lo, exec_lo, s1
	v_mov_b32_e32 v2, s33
	s_mov_b32 s0, 0
.LBB11_27:                              ; =>This Inner Loop Header: Depth=1
	scratch_load_u8 v3, v2, off
	v_add_nc_u32_e32 v1, 1, v2
	s_delay_alu instid0(VALU_DEP_1) | instskip(SKIP_3) | instid1(SALU_CYCLE_1)
	v_mov_b32_e32 v2, v1
	s_waitcnt vmcnt(0)
	v_cmp_eq_u16_e32 vcc_lo, 0, v3
	s_or_b32 s0, vcc_lo, s0
	s_and_not1_b32 exec_lo, exec_lo, s0
	s_cbranch_execnz .LBB11_27
; %bb.28:
	s_or_b32 exec_lo, exec_lo, s0
	v_cmp_ne_u32_e64 s0, -1, s33
	s_delay_alu instid0(VALU_DEP_1)
	s_and_b32 vcc_lo, exec_lo, s0
	s_cbranch_vccz .LBB11_113
; %bb.29:
	v_subrev_nc_u32_e32 v1, s33, v1
	v_dual_mov_b32 v38, s33 :: v_dual_and_b32 v3, 2, v10
	v_dual_mov_b32 v13, 0 :: v_dual_and_b32 v6, -3, v10
	v_dual_mov_b32 v7, v11 :: v_dual_mov_b32 v14, 2
	s_delay_alu instid0(VALU_DEP_4)
	v_ashrrev_i32_e32 v2, 31, v1
	v_mov_b32_e32 v15, 1
	s_mov_b32 s11, 0
	s_mov_b32 s10, 0
	s_branch .LBB11_31
.LBB11_30:                              ;   in Loop: Header=BB11_31 Depth=1
	s_or_b32 exec_lo, exec_lo, s1
	v_sub_co_u32 v1, vcc_lo, v1, v32
	v_sub_co_ci_u32_e32 v2, vcc_lo, v2, v33, vcc_lo
	v_add_nc_u32_e32 v38, v38, v32
	s_delay_alu instid0(VALU_DEP_2) | instskip(SKIP_1) | instid1(SALU_CYCLE_1)
	v_cmp_eq_u64_e32 vcc_lo, 0, v[1:2]
	s_or_b32 s10, vcc_lo, s10
	s_and_not1_b32 exec_lo, exec_lo, s10
	s_cbranch_execz .LBB11_114
.LBB11_31:                              ; =>This Loop Header: Depth=1
                                        ;     Child Loop BB11_34 Depth 2
                                        ;     Child Loop BB11_42 Depth 2
	;; [unrolled: 1-line block ×11, first 2 shown]
	v_cmp_gt_u64_e32 vcc_lo, 56, v[1:2]
	s_mov_b32 s4, exec_lo
                                        ; implicit-def: $vgpr8_vgpr9
                                        ; implicit-def: $sgpr1
	v_dual_cndmask_b32 v33, 0, v2 :: v_dual_cndmask_b32 v32, 56, v1
	v_cmpx_gt_u64_e32 8, v[1:2]
	s_xor_b32 s4, exec_lo, s4
	s_cbranch_execz .LBB11_37
; %bb.32:                               ;   in Loop: Header=BB11_31 Depth=1
	s_waitcnt vmcnt(0)
	v_mov_b32_e32 v8, 0
	v_mov_b32_e32 v9, 0
	s_mov_b64 s[0:1], 0
	s_mov_b32 s5, exec_lo
	v_cmpx_ne_u64_e32 0, v[1:2]
	s_cbranch_execz .LBB11_36
; %bb.33:                               ;   in Loop: Header=BB11_31 Depth=1
	v_lshlrev_b64 v[16:17], 3, v[32:33]
	v_mov_b32_e32 v8, 0
	v_dual_mov_b32 v9, 0 :: v_dual_mov_b32 v12, v38
	s_mov_b32 s6, 0
.LBB11_34:                              ;   Parent Loop BB11_31 Depth=1
                                        ; =>  This Inner Loop Header: Depth=2
	scratch_load_u8 v17, v12, off
	v_mov_b32_e32 v18, s11
	v_add_nc_u32_e32 v12, 1, v12
	s_waitcnt vmcnt(0)
	v_and_b32_e32 v17, 0xffff, v17
	s_delay_alu instid0(VALU_DEP_1) | instskip(SKIP_3) | instid1(VALU_DEP_2)
	v_lshlrev_b64 v[17:18], s0, v[17:18]
	s_add_u32 s0, s0, 8
	s_addc_u32 s1, s1, 0
	v_cmp_eq_u32_e32 vcc_lo, s0, v16
	v_or_b32_e32 v9, v18, v9
	s_delay_alu instid0(VALU_DEP_3) | instskip(SKIP_1) | instid1(SALU_CYCLE_1)
	v_or_b32_e32 v8, v17, v8
	s_or_b32 s6, vcc_lo, s6
	s_and_not1_b32 exec_lo, exec_lo, s6
	s_cbranch_execnz .LBB11_34
; %bb.35:                               ;   in Loop: Header=BB11_31 Depth=1
	s_or_b32 exec_lo, exec_lo, s6
.LBB11_36:                              ;   in Loop: Header=BB11_31 Depth=1
	s_delay_alu instid0(SALU_CYCLE_1)
	s_or_b32 exec_lo, exec_lo, s5
	s_mov_b32 s1, 0
.LBB11_37:                              ;   in Loop: Header=BB11_31 Depth=1
	s_or_saveexec_b32 s0, s4
	v_mov_b32_e32 v18, s1
	v_mov_b32_e32 v12, v38
	s_xor_b32 exec_lo, exec_lo, s0
	s_cbranch_execz .LBB11_39
; %bb.38:                               ;   in Loop: Header=BB11_31 Depth=1
	scratch_load_b64 v[8:9], v38, off
	v_add_nc_u32_e32 v18, -8, v32
	s_waitcnt vmcnt(0)
	v_and_b32_e32 v12, 0xff, v9
	v_and_b32_e32 v16, 0xff00, v9
	;; [unrolled: 1-line block ×4, first 2 shown]
	v_or3_b32 v8, v8, 0, 0
	s_delay_alu instid0(VALU_DEP_4) | instskip(NEXT) | instid1(VALU_DEP_1)
	v_or_b32_e32 v12, v12, v16
	v_or3_b32 v9, v12, v17, v9
	v_add_nc_u32_e32 v12, 8, v38
.LBB11_39:                              ;   in Loop: Header=BB11_31 Depth=1
	s_or_b32 exec_lo, exec_lo, s0
                                        ; implicit-def: $vgpr16_vgpr17
                                        ; implicit-def: $sgpr1
	s_delay_alu instid0(SALU_CYCLE_1)
	s_mov_b32 s0, exec_lo
	v_cmpx_gt_u32_e32 8, v18
	s_xor_b32 s4, exec_lo, s0
	s_cbranch_execz .LBB11_45
; %bb.40:                               ;   in Loop: Header=BB11_31 Depth=1
	v_mov_b32_e32 v16, 0
	v_mov_b32_e32 v17, 0
	s_mov_b32 s5, exec_lo
	v_cmpx_ne_u32_e32 0, v18
	s_cbranch_execz .LBB11_44
; %bb.41:                               ;   in Loop: Header=BB11_31 Depth=1
	v_mov_b32_e32 v16, 0
	v_mov_b32_e32 v17, 0
	s_mov_b64 s[0:1], 0
	s_mov_b32 s6, 0
	s_mov_b32 s7, 0
	.p2align	6
.LBB11_42:                              ;   Parent Loop BB11_31 Depth=1
                                        ; =>  This Inner Loop Header: Depth=2
	s_delay_alu instid0(SALU_CYCLE_1) | instskip(SKIP_1) | instid1(SALU_CYCLE_1)
	v_dual_mov_b32 v20, s11 :: v_dual_add_nc_u32 v19, s7, v12
	s_add_i32 s7, s7, 1
	v_cmp_eq_u32_e32 vcc_lo, s7, v18
	scratch_load_u8 v19, v19, off
	s_waitcnt vmcnt(0)
	v_and_b32_e32 v19, 0xffff, v19
	s_delay_alu instid0(VALU_DEP_1) | instskip(SKIP_3) | instid1(VALU_DEP_1)
	v_lshlrev_b64 v[19:20], s0, v[19:20]
	s_add_u32 s0, s0, 8
	s_addc_u32 s1, s1, 0
	s_or_b32 s6, vcc_lo, s6
	v_or_b32_e32 v17, v20, v17
	s_delay_alu instid0(VALU_DEP_2)
	v_or_b32_e32 v16, v19, v16
	s_and_not1_b32 exec_lo, exec_lo, s6
	s_cbranch_execnz .LBB11_42
; %bb.43:                               ;   in Loop: Header=BB11_31 Depth=1
	s_or_b32 exec_lo, exec_lo, s6
.LBB11_44:                              ;   in Loop: Header=BB11_31 Depth=1
	s_delay_alu instid0(SALU_CYCLE_1)
	s_or_b32 exec_lo, exec_lo, s5
	s_mov_b32 s1, 0
                                        ; implicit-def: $vgpr18
.LBB11_45:                              ;   in Loop: Header=BB11_31 Depth=1
	s_or_saveexec_b32 s0, s4
	v_mov_b32_e32 v20, s1
	s_xor_b32 exec_lo, exec_lo, s0
	s_cbranch_execz .LBB11_47
; %bb.46:                               ;   in Loop: Header=BB11_31 Depth=1
	scratch_load_b64 v[16:17], v12, off
	v_add_nc_u32_e32 v12, 8, v12
	s_waitcnt vmcnt(0)
	v_and_b32_e32 v19, 0xff, v17
	v_and_b32_e32 v20, 0xff00, v17
	;; [unrolled: 1-line block ×4, first 2 shown]
	v_or3_b32 v16, v16, 0, 0
	s_delay_alu instid0(VALU_DEP_4) | instskip(SKIP_1) | instid1(VALU_DEP_2)
	v_or_b32_e32 v19, v19, v20
	v_add_nc_u32_e32 v20, -8, v18
	v_or3_b32 v17, v19, v21, v17
.LBB11_47:                              ;   in Loop: Header=BB11_31 Depth=1
	s_or_b32 exec_lo, exec_lo, s0
                                        ; implicit-def: $sgpr1
	s_delay_alu instid0(SALU_CYCLE_1) | instskip(NEXT) | instid1(VALU_DEP_1)
	s_mov_b32 s0, exec_lo
	v_cmpx_gt_u32_e32 8, v20
	s_xor_b32 s4, exec_lo, s0
	s_cbranch_execz .LBB11_53
; %bb.48:                               ;   in Loop: Header=BB11_31 Depth=1
	v_mov_b32_e32 v18, 0
	v_mov_b32_e32 v19, 0
	s_mov_b32 s5, exec_lo
	v_cmpx_ne_u32_e32 0, v20
	s_cbranch_execz .LBB11_52
; %bb.49:                               ;   in Loop: Header=BB11_31 Depth=1
	v_mov_b32_e32 v18, 0
	v_mov_b32_e32 v19, 0
	s_mov_b64 s[0:1], 0
	s_mov_b32 s6, 0
	s_mov_b32 s7, 0
	.p2align	6
.LBB11_50:                              ;   Parent Loop BB11_31 Depth=1
                                        ; =>  This Inner Loop Header: Depth=2
	s_delay_alu instid0(SALU_CYCLE_1) | instskip(SKIP_1) | instid1(SALU_CYCLE_1)
	v_dual_mov_b32 v22, s11 :: v_dual_add_nc_u32 v21, s7, v12
	s_add_i32 s7, s7, 1
	v_cmp_eq_u32_e32 vcc_lo, s7, v20
	scratch_load_u8 v21, v21, off
	s_waitcnt vmcnt(0)
	v_and_b32_e32 v21, 0xffff, v21
	s_delay_alu instid0(VALU_DEP_1) | instskip(SKIP_3) | instid1(VALU_DEP_1)
	v_lshlrev_b64 v[21:22], s0, v[21:22]
	s_add_u32 s0, s0, 8
	s_addc_u32 s1, s1, 0
	s_or_b32 s6, vcc_lo, s6
	v_or_b32_e32 v19, v22, v19
	s_delay_alu instid0(VALU_DEP_2)
	v_or_b32_e32 v18, v21, v18
	s_and_not1_b32 exec_lo, exec_lo, s6
	s_cbranch_execnz .LBB11_50
; %bb.51:                               ;   in Loop: Header=BB11_31 Depth=1
	s_or_b32 exec_lo, exec_lo, s6
.LBB11_52:                              ;   in Loop: Header=BB11_31 Depth=1
	s_delay_alu instid0(SALU_CYCLE_1)
	s_or_b32 exec_lo, exec_lo, s5
	s_mov_b32 s1, 0
                                        ; implicit-def: $vgpr20
.LBB11_53:                              ;   in Loop: Header=BB11_31 Depth=1
	s_or_saveexec_b32 s0, s4
	v_mov_b32_e32 v22, s1
	s_xor_b32 exec_lo, exec_lo, s0
	s_cbranch_execz .LBB11_55
; %bb.54:                               ;   in Loop: Header=BB11_31 Depth=1
	scratch_load_b64 v[18:19], v12, off
	v_add_nc_u32_e32 v12, 8, v12
	s_waitcnt vmcnt(0)
	v_and_b32_e32 v21, 0xff, v19
	v_and_b32_e32 v22, 0xff00, v19
	v_and_b32_e32 v23, 0xff0000, v19
	v_and_b32_e32 v19, 0xff000000, v19
	v_or3_b32 v18, v18, 0, 0
	s_delay_alu instid0(VALU_DEP_4) | instskip(SKIP_1) | instid1(VALU_DEP_2)
	v_or_b32_e32 v21, v21, v22
	v_add_nc_u32_e32 v22, -8, v20
	v_or3_b32 v19, v21, v23, v19
.LBB11_55:                              ;   in Loop: Header=BB11_31 Depth=1
	s_or_b32 exec_lo, exec_lo, s0
                                        ; implicit-def: $vgpr20_vgpr21
                                        ; implicit-def: $sgpr1
	s_delay_alu instid0(SALU_CYCLE_1) | instskip(NEXT) | instid1(VALU_DEP_1)
	s_mov_b32 s0, exec_lo
	v_cmpx_gt_u32_e32 8, v22
	s_xor_b32 s4, exec_lo, s0
	s_cbranch_execz .LBB11_61
; %bb.56:                               ;   in Loop: Header=BB11_31 Depth=1
	v_mov_b32_e32 v20, 0
	v_mov_b32_e32 v21, 0
	s_mov_b32 s5, exec_lo
	v_cmpx_ne_u32_e32 0, v22
	s_cbranch_execz .LBB11_60
; %bb.57:                               ;   in Loop: Header=BB11_31 Depth=1
	v_mov_b32_e32 v20, 0
	v_mov_b32_e32 v21, 0
	s_mov_b64 s[0:1], 0
	s_mov_b32 s6, 0
	s_mov_b32 s7, 0
	.p2align	6
.LBB11_58:                              ;   Parent Loop BB11_31 Depth=1
                                        ; =>  This Inner Loop Header: Depth=2
	s_delay_alu instid0(SALU_CYCLE_1) | instskip(SKIP_1) | instid1(SALU_CYCLE_1)
	v_dual_mov_b32 v24, s11 :: v_dual_add_nc_u32 v23, s7, v12
	s_add_i32 s7, s7, 1
	v_cmp_eq_u32_e32 vcc_lo, s7, v22
	scratch_load_u8 v23, v23, off
	s_waitcnt vmcnt(0)
	v_and_b32_e32 v23, 0xffff, v23
	s_delay_alu instid0(VALU_DEP_1) | instskip(SKIP_3) | instid1(VALU_DEP_1)
	v_lshlrev_b64 v[23:24], s0, v[23:24]
	s_add_u32 s0, s0, 8
	s_addc_u32 s1, s1, 0
	s_or_b32 s6, vcc_lo, s6
	v_or_b32_e32 v21, v24, v21
	s_delay_alu instid0(VALU_DEP_2)
	v_or_b32_e32 v20, v23, v20
	s_and_not1_b32 exec_lo, exec_lo, s6
	s_cbranch_execnz .LBB11_58
; %bb.59:                               ;   in Loop: Header=BB11_31 Depth=1
	s_or_b32 exec_lo, exec_lo, s6
.LBB11_60:                              ;   in Loop: Header=BB11_31 Depth=1
	s_delay_alu instid0(SALU_CYCLE_1)
	s_or_b32 exec_lo, exec_lo, s5
	s_mov_b32 s1, 0
                                        ; implicit-def: $vgpr22
.LBB11_61:                              ;   in Loop: Header=BB11_31 Depth=1
	s_or_saveexec_b32 s0, s4
	v_mov_b32_e32 v24, s1
	s_xor_b32 exec_lo, exec_lo, s0
	s_cbranch_execz .LBB11_63
; %bb.62:                               ;   in Loop: Header=BB11_31 Depth=1
	scratch_load_b64 v[20:21], v12, off
	v_add_nc_u32_e32 v12, 8, v12
	s_waitcnt vmcnt(0)
	v_and_b32_e32 v23, 0xff, v21
	v_and_b32_e32 v24, 0xff00, v21
	;; [unrolled: 1-line block ×4, first 2 shown]
	v_or3_b32 v20, v20, 0, 0
	s_delay_alu instid0(VALU_DEP_4) | instskip(SKIP_1) | instid1(VALU_DEP_2)
	v_or_b32_e32 v23, v23, v24
	v_add_nc_u32_e32 v24, -8, v22
	v_or3_b32 v21, v23, v25, v21
.LBB11_63:                              ;   in Loop: Header=BB11_31 Depth=1
	s_or_b32 exec_lo, exec_lo, s0
                                        ; implicit-def: $sgpr1
	s_delay_alu instid0(SALU_CYCLE_1) | instskip(NEXT) | instid1(VALU_DEP_1)
	s_mov_b32 s0, exec_lo
	v_cmpx_gt_u32_e32 8, v24
	s_xor_b32 s4, exec_lo, s0
	s_cbranch_execz .LBB11_69
; %bb.64:                               ;   in Loop: Header=BB11_31 Depth=1
	v_mov_b32_e32 v22, 0
	v_mov_b32_e32 v23, 0
	s_mov_b32 s5, exec_lo
	v_cmpx_ne_u32_e32 0, v24
	s_cbranch_execz .LBB11_68
; %bb.65:                               ;   in Loop: Header=BB11_31 Depth=1
	v_mov_b32_e32 v22, 0
	v_mov_b32_e32 v23, 0
	s_mov_b64 s[0:1], 0
	s_mov_b32 s6, 0
	s_mov_b32 s7, 0
	.p2align	6
.LBB11_66:                              ;   Parent Loop BB11_31 Depth=1
                                        ; =>  This Inner Loop Header: Depth=2
	s_delay_alu instid0(SALU_CYCLE_1) | instskip(SKIP_1) | instid1(SALU_CYCLE_1)
	v_dual_mov_b32 v26, s11 :: v_dual_add_nc_u32 v25, s7, v12
	s_add_i32 s7, s7, 1
	v_cmp_eq_u32_e32 vcc_lo, s7, v24
	scratch_load_u8 v25, v25, off
	s_waitcnt vmcnt(0)
	v_and_b32_e32 v25, 0xffff, v25
	s_delay_alu instid0(VALU_DEP_1) | instskip(SKIP_3) | instid1(VALU_DEP_1)
	v_lshlrev_b64 v[25:26], s0, v[25:26]
	s_add_u32 s0, s0, 8
	s_addc_u32 s1, s1, 0
	s_or_b32 s6, vcc_lo, s6
	v_or_b32_e32 v23, v26, v23
	s_delay_alu instid0(VALU_DEP_2)
	v_or_b32_e32 v22, v25, v22
	s_and_not1_b32 exec_lo, exec_lo, s6
	s_cbranch_execnz .LBB11_66
; %bb.67:                               ;   in Loop: Header=BB11_31 Depth=1
	s_or_b32 exec_lo, exec_lo, s6
.LBB11_68:                              ;   in Loop: Header=BB11_31 Depth=1
	s_delay_alu instid0(SALU_CYCLE_1)
	s_or_b32 exec_lo, exec_lo, s5
	s_mov_b32 s1, 0
                                        ; implicit-def: $vgpr24
.LBB11_69:                              ;   in Loop: Header=BB11_31 Depth=1
	s_or_saveexec_b32 s0, s4
	v_mov_b32_e32 v26, s1
	s_xor_b32 exec_lo, exec_lo, s0
	s_cbranch_execz .LBB11_71
; %bb.70:                               ;   in Loop: Header=BB11_31 Depth=1
	scratch_load_b64 v[22:23], v12, off
	v_add_nc_u32_e32 v12, 8, v12
	s_waitcnt vmcnt(0)
	v_and_b32_e32 v25, 0xff, v23
	v_and_b32_e32 v26, 0xff00, v23
	;; [unrolled: 1-line block ×4, first 2 shown]
	v_or3_b32 v22, v22, 0, 0
	s_delay_alu instid0(VALU_DEP_4) | instskip(SKIP_1) | instid1(VALU_DEP_2)
	v_or_b32_e32 v25, v25, v26
	v_add_nc_u32_e32 v26, -8, v24
	v_or3_b32 v23, v25, v27, v23
.LBB11_71:                              ;   in Loop: Header=BB11_31 Depth=1
	s_or_b32 exec_lo, exec_lo, s0
                                        ; implicit-def: $vgpr24_vgpr25
                                        ; implicit-def: $sgpr1
	s_delay_alu instid0(SALU_CYCLE_1) | instskip(NEXT) | instid1(VALU_DEP_1)
	s_mov_b32 s0, exec_lo
	v_cmpx_gt_u32_e32 8, v26
	s_xor_b32 s4, exec_lo, s0
	s_cbranch_execz .LBB11_77
; %bb.72:                               ;   in Loop: Header=BB11_31 Depth=1
	v_mov_b32_e32 v24, 0
	v_mov_b32_e32 v25, 0
	s_mov_b32 s5, exec_lo
	v_cmpx_ne_u32_e32 0, v26
	s_cbranch_execz .LBB11_76
; %bb.73:                               ;   in Loop: Header=BB11_31 Depth=1
	v_mov_b32_e32 v24, 0
	v_mov_b32_e32 v25, 0
	s_mov_b64 s[0:1], 0
	s_mov_b32 s6, 0
	s_mov_b32 s7, 0
	.p2align	6
.LBB11_74:                              ;   Parent Loop BB11_31 Depth=1
                                        ; =>  This Inner Loop Header: Depth=2
	s_delay_alu instid0(SALU_CYCLE_1) | instskip(SKIP_1) | instid1(SALU_CYCLE_1)
	v_dual_mov_b32 v28, s11 :: v_dual_add_nc_u32 v27, s7, v12
	s_add_i32 s7, s7, 1
	v_cmp_eq_u32_e32 vcc_lo, s7, v26
	scratch_load_u8 v27, v27, off
	s_waitcnt vmcnt(0)
	v_and_b32_e32 v27, 0xffff, v27
	s_delay_alu instid0(VALU_DEP_1) | instskip(SKIP_3) | instid1(VALU_DEP_1)
	v_lshlrev_b64 v[27:28], s0, v[27:28]
	s_add_u32 s0, s0, 8
	s_addc_u32 s1, s1, 0
	s_or_b32 s6, vcc_lo, s6
	v_or_b32_e32 v25, v28, v25
	s_delay_alu instid0(VALU_DEP_2)
	v_or_b32_e32 v24, v27, v24
	s_and_not1_b32 exec_lo, exec_lo, s6
	s_cbranch_execnz .LBB11_74
; %bb.75:                               ;   in Loop: Header=BB11_31 Depth=1
	s_or_b32 exec_lo, exec_lo, s6
.LBB11_76:                              ;   in Loop: Header=BB11_31 Depth=1
	s_delay_alu instid0(SALU_CYCLE_1)
	s_or_b32 exec_lo, exec_lo, s5
	s_mov_b32 s1, 0
                                        ; implicit-def: $vgpr26
.LBB11_77:                              ;   in Loop: Header=BB11_31 Depth=1
	s_or_saveexec_b32 s0, s4
	v_mov_b32_e32 v28, s1
	s_xor_b32 exec_lo, exec_lo, s0
	s_cbranch_execz .LBB11_79
; %bb.78:                               ;   in Loop: Header=BB11_31 Depth=1
	scratch_load_b64 v[24:25], v12, off
	v_add_nc_u32_e32 v12, 8, v12
	s_waitcnt vmcnt(0)
	v_and_b32_e32 v27, 0xff, v25
	v_and_b32_e32 v28, 0xff00, v25
	;; [unrolled: 1-line block ×4, first 2 shown]
	v_or3_b32 v24, v24, 0, 0
	s_delay_alu instid0(VALU_DEP_4) | instskip(SKIP_1) | instid1(VALU_DEP_2)
	v_or_b32_e32 v27, v27, v28
	v_add_nc_u32_e32 v28, -8, v26
	v_or3_b32 v25, v27, v29, v25
.LBB11_79:                              ;   in Loop: Header=BB11_31 Depth=1
	s_or_b32 exec_lo, exec_lo, s0
	s_delay_alu instid0(SALU_CYCLE_1) | instskip(NEXT) | instid1(VALU_DEP_1)
	s_mov_b32 s0, exec_lo
	v_cmpx_gt_u32_e32 8, v28
	s_xor_b32 s4, exec_lo, s0
	s_cbranch_execz .LBB11_85
; %bb.80:                               ;   in Loop: Header=BB11_31 Depth=1
	v_mov_b32_e32 v26, 0
	v_mov_b32_e32 v27, 0
	s_mov_b32 s5, exec_lo
	v_cmpx_ne_u32_e32 0, v28
	s_cbranch_execz .LBB11_84
; %bb.81:                               ;   in Loop: Header=BB11_31 Depth=1
	v_mov_b32_e32 v26, 0
	v_mov_b32_e32 v27, 0
	s_mov_b64 s[0:1], 0
	s_mov_b32 s6, 0
	.p2align	6
.LBB11_82:                              ;   Parent Loop BB11_31 Depth=1
                                        ; =>  This Inner Loop Header: Depth=2
	scratch_load_u8 v29, v12, off
	v_mov_b32_e32 v30, s11
	v_add_nc_u32_e32 v28, -1, v28
	v_add_nc_u32_e32 v12, 1, v12
	s_delay_alu instid0(VALU_DEP_2) | instskip(SKIP_2) | instid1(VALU_DEP_1)
	v_cmp_eq_u32_e32 vcc_lo, 0, v28
	s_waitcnt vmcnt(0)
	v_and_b32_e32 v29, 0xffff, v29
	v_lshlrev_b64 v[29:30], s0, v[29:30]
	s_add_u32 s0, s0, 8
	s_addc_u32 s1, s1, 0
	s_or_b32 s6, vcc_lo, s6
	s_delay_alu instid0(VALU_DEP_1) | instskip(NEXT) | instid1(VALU_DEP_2)
	v_or_b32_e32 v27, v30, v27
	v_or_b32_e32 v26, v29, v26
	s_and_not1_b32 exec_lo, exec_lo, s6
	s_cbranch_execnz .LBB11_82
; %bb.83:                               ;   in Loop: Header=BB11_31 Depth=1
	s_or_b32 exec_lo, exec_lo, s6
.LBB11_84:                              ;   in Loop: Header=BB11_31 Depth=1
	s_delay_alu instid0(SALU_CYCLE_1)
	s_or_b32 exec_lo, exec_lo, s5
                                        ; implicit-def: $vgpr12
.LBB11_85:                              ;   in Loop: Header=BB11_31 Depth=1
	s_and_not1_saveexec_b32 s0, s4
	s_cbranch_execz .LBB11_87
; %bb.86:                               ;   in Loop: Header=BB11_31 Depth=1
	scratch_load_b64 v[26:27], v12, off
	s_waitcnt vmcnt(0)
	v_and_b32_e32 v12, 0xff, v27
	v_and_b32_e32 v28, 0xff00, v27
	;; [unrolled: 1-line block ×4, first 2 shown]
	v_or3_b32 v26, v26, 0, 0
	s_delay_alu instid0(VALU_DEP_4) | instskip(NEXT) | instid1(VALU_DEP_1)
	v_or_b32_e32 v12, v12, v28
	v_or3_b32 v27, v12, v29, v27
.LBB11_87:                              ;   in Loop: Header=BB11_31 Depth=1
	s_or_b32 exec_lo, exec_lo, s0
	v_readfirstlane_b32 s0, v37
	v_mov_b32_e32 v34, 0
	v_mov_b32_e32 v35, 0
	s_delay_alu instid0(VALU_DEP_3) | instskip(NEXT) | instid1(VALU_DEP_1)
	v_cmp_eq_u32_e64 s0, s0, v37
	s_and_saveexec_b32 s1, s0
	s_cbranch_execz .LBB11_93
; %bb.88:                               ;   in Loop: Header=BB11_31 Depth=1
	global_load_b64 v[30:31], v13, s[2:3] offset:24 glc
	s_waitcnt vmcnt(0)
	buffer_gl1_inv
	buffer_gl0_inv
	s_clause 0x1
	global_load_b64 v[28:29], v13, s[2:3] offset:40
	global_load_b64 v[34:35], v13, s[2:3]
	s_mov_b32 s4, exec_lo
	s_waitcnt vmcnt(1)
	v_and_b32_e32 v12, v29, v31
	v_and_b32_e32 v28, v28, v30
	s_delay_alu instid0(VALU_DEP_2) | instskip(NEXT) | instid1(VALU_DEP_2)
	v_mul_lo_u32 v12, v12, 24
	v_mul_hi_u32 v29, v28, 24
	v_mul_lo_u32 v28, v28, 24
	s_delay_alu instid0(VALU_DEP_2) | instskip(SKIP_1) | instid1(VALU_DEP_2)
	v_add_nc_u32_e32 v12, v29, v12
	s_waitcnt vmcnt(0)
	v_add_co_u32 v28, vcc_lo, v34, v28
	s_delay_alu instid0(VALU_DEP_2)
	v_add_co_ci_u32_e32 v29, vcc_lo, v35, v12, vcc_lo
	global_load_b64 v[28:29], v[28:29], off glc
	s_waitcnt vmcnt(0)
	global_atomic_cmpswap_b64 v[34:35], v13, v[28:31], s[2:3] offset:24 glc
	s_waitcnt vmcnt(0)
	buffer_gl1_inv
	buffer_gl0_inv
	v_cmpx_ne_u64_e64 v[34:35], v[30:31]
	s_cbranch_execz .LBB11_92
; %bb.89:                               ;   in Loop: Header=BB11_31 Depth=1
	s_mov_b32 s5, 0
	.p2align	6
.LBB11_90:                              ;   Parent Loop BB11_31 Depth=1
                                        ; =>  This Inner Loop Header: Depth=2
	s_sleep 1
	s_clause 0x1
	global_load_b64 v[28:29], v13, s[2:3] offset:40
	global_load_b64 v[48:49], v13, s[2:3]
	v_dual_mov_b32 v30, v34 :: v_dual_mov_b32 v31, v35
	s_waitcnt vmcnt(1)
	s_delay_alu instid0(VALU_DEP_1) | instskip(SKIP_1) | instid1(VALU_DEP_1)
	v_and_b32_e32 v12, v28, v30
	s_waitcnt vmcnt(0)
	v_mad_u64_u32 v[34:35], null, v12, 24, v[48:49]
	s_delay_alu instid0(VALU_DEP_1) | instskip(NEXT) | instid1(VALU_DEP_1)
	v_dual_mov_b32 v12, v35 :: v_dual_and_b32 v39, v29, v31
	v_mad_u64_u32 v[28:29], null, v39, 24, v[12:13]
	s_delay_alu instid0(VALU_DEP_1)
	v_mov_b32_e32 v35, v28
	global_load_b64 v[28:29], v[34:35], off glc
	s_waitcnt vmcnt(0)
	global_atomic_cmpswap_b64 v[34:35], v13, v[28:31], s[2:3] offset:24 glc
	s_waitcnt vmcnt(0)
	buffer_gl1_inv
	buffer_gl0_inv
	v_cmp_eq_u64_e32 vcc_lo, v[34:35], v[30:31]
	s_or_b32 s5, vcc_lo, s5
	s_delay_alu instid0(SALU_CYCLE_1)
	s_and_not1_b32 exec_lo, exec_lo, s5
	s_cbranch_execnz .LBB11_90
; %bb.91:                               ;   in Loop: Header=BB11_31 Depth=1
	s_or_b32 exec_lo, exec_lo, s5
.LBB11_92:                              ;   in Loop: Header=BB11_31 Depth=1
	s_delay_alu instid0(SALU_CYCLE_1)
	s_or_b32 exec_lo, exec_lo, s4
.LBB11_93:                              ;   in Loop: Header=BB11_31 Depth=1
	s_delay_alu instid0(SALU_CYCLE_1)
	s_or_b32 exec_lo, exec_lo, s1
	s_clause 0x1
	global_load_b64 v[48:49], v13, s[2:3] offset:40
	global_load_b128 v[28:31], v13, s[2:3]
	v_readfirstlane_b32 s4, v34
	v_readfirstlane_b32 s5, v35
	s_mov_b32 s1, exec_lo
	s_waitcnt vmcnt(1)
	v_readfirstlane_b32 s6, v48
	v_readfirstlane_b32 s7, v49
	s_delay_alu instid0(VALU_DEP_1) | instskip(NEXT) | instid1(SALU_CYCLE_1)
	s_and_b64 s[6:7], s[4:5], s[6:7]
	s_mul_i32 s12, s7, 24
	s_mul_hi_u32 s13, s6, 24
	s_mul_i32 s14, s6, 24
	s_add_i32 s13, s13, s12
	s_waitcnt vmcnt(0)
	v_add_co_u32 v34, vcc_lo, v28, s14
	v_add_co_ci_u32_e32 v35, vcc_lo, s13, v29, vcc_lo
	s_and_saveexec_b32 s12, s0
	s_cbranch_execz .LBB11_95
; %bb.94:                               ;   in Loop: Header=BB11_31 Depth=1
	v_mov_b32_e32 v12, s1
	global_store_b128 v[34:35], v[12:15], off offset:8
.LBB11_95:                              ;   in Loop: Header=BB11_31 Depth=1
	s_or_b32 exec_lo, exec_lo, s12
	v_cmp_lt_u64_e32 vcc_lo, 56, v[1:2]
	v_or_b32_e32 v12, 0, v7
	v_or_b32_e32 v39, v6, v3
	v_lshl_add_u32 v48, v32, 2, 28
	s_lshl_b64 s[6:7], s[6:7], 12
	s_delay_alu instid0(SALU_CYCLE_1) | instskip(NEXT) | instid1(VALU_DEP_1)
	v_add_co_u32 v30, s1, v30, s6
	v_add_co_ci_u32_e64 v31, s1, s7, v31, s1
	v_dual_cndmask_b32 v7, v12, v7 :: v_dual_cndmask_b32 v6, v39, v6
	v_and_b32_e32 v12, 0x1e0, v48
	s_delay_alu instid0(VALU_DEP_4) | instskip(NEXT) | instid1(VALU_DEP_4)
	v_readfirstlane_b32 s6, v30
	v_readfirstlane_b32 s7, v31
	s_delay_alu instid0(VALU_DEP_3)
	v_and_or_b32 v6, 0xffffff1f, v6, v12
	s_clause 0x3
	global_store_b128 v36, v[6:9], s[6:7]
	global_store_b128 v36, v[16:19], s[6:7] offset:16
	global_store_b128 v36, v[20:23], s[6:7] offset:32
	;; [unrolled: 1-line block ×3, first 2 shown]
	s_and_saveexec_b32 s1, s0
	s_cbranch_execz .LBB11_103
; %bb.96:                               ;   in Loop: Header=BB11_31 Depth=1
	s_clause 0x1
	global_load_b64 v[20:21], v13, s[2:3] offset:32 glc
	global_load_b64 v[6:7], v13, s[2:3] offset:40
	v_dual_mov_b32 v18, s4 :: v_dual_mov_b32 v19, s5
	s_waitcnt vmcnt(0)
	v_readfirstlane_b32 s6, v6
	v_readfirstlane_b32 s7, v7
	s_delay_alu instid0(VALU_DEP_1) | instskip(NEXT) | instid1(SALU_CYCLE_1)
	s_and_b64 s[6:7], s[6:7], s[4:5]
	s_mul_i32 s7, s7, 24
	s_mul_hi_u32 s12, s6, 24
	s_mul_i32 s6, s6, 24
	s_add_i32 s12, s12, s7
	v_add_co_u32 v16, vcc_lo, v28, s6
	v_add_co_ci_u32_e32 v17, vcc_lo, s12, v29, vcc_lo
	s_mov_b32 s6, exec_lo
	global_store_b64 v[16:17], v[20:21], off
	s_waitcnt_vscnt null, 0x0
	global_atomic_cmpswap_b64 v[8:9], v13, v[18:21], s[2:3] offset:32 glc
	s_waitcnt vmcnt(0)
	v_cmpx_ne_u64_e64 v[8:9], v[20:21]
	s_cbranch_execz .LBB11_99
; %bb.97:                               ;   in Loop: Header=BB11_31 Depth=1
	s_mov_b32 s7, 0
.LBB11_98:                              ;   Parent Loop BB11_31 Depth=1
                                        ; =>  This Inner Loop Header: Depth=2
	v_dual_mov_b32 v6, s4 :: v_dual_mov_b32 v7, s5
	s_sleep 1
	global_store_b64 v[16:17], v[8:9], off
	s_waitcnt_vscnt null, 0x0
	global_atomic_cmpswap_b64 v[6:7], v13, v[6:9], s[2:3] offset:32 glc
	s_waitcnt vmcnt(0)
	v_cmp_eq_u64_e32 vcc_lo, v[6:7], v[8:9]
	v_dual_mov_b32 v9, v7 :: v_dual_mov_b32 v8, v6
	s_or_b32 s7, vcc_lo, s7
	s_delay_alu instid0(SALU_CYCLE_1)
	s_and_not1_b32 exec_lo, exec_lo, s7
	s_cbranch_execnz .LBB11_98
.LBB11_99:                              ;   in Loop: Header=BB11_31 Depth=1
	s_or_b32 exec_lo, exec_lo, s6
	global_load_b64 v[6:7], v13, s[2:3] offset:16
	s_mov_b32 s7, exec_lo
	s_mov_b32 s6, exec_lo
	v_mbcnt_lo_u32_b32 v8, s7, 0
	s_delay_alu instid0(VALU_DEP_1)
	v_cmpx_eq_u32_e32 0, v8
	s_cbranch_execz .LBB11_101
; %bb.100:                              ;   in Loop: Header=BB11_31 Depth=1
	s_bcnt1_i32_b32 s7, s7
	s_delay_alu instid0(SALU_CYCLE_1)
	v_mov_b32_e32 v12, s7
	s_waitcnt vmcnt(0)
	global_atomic_add_u64 v[6:7], v[12:13], off offset:8
.LBB11_101:                             ;   in Loop: Header=BB11_31 Depth=1
	s_or_b32 exec_lo, exec_lo, s6
	s_waitcnt vmcnt(0)
	global_load_b64 v[8:9], v[6:7], off offset:16
	s_waitcnt vmcnt(0)
	v_cmp_eq_u64_e32 vcc_lo, 0, v[8:9]
	s_cbranch_vccnz .LBB11_103
; %bb.102:                              ;   in Loop: Header=BB11_31 Depth=1
	global_load_b32 v12, v[6:7], off offset:24
	s_waitcnt vmcnt(0)
	v_and_b32_e32 v6, 0xffffff, v12
	s_waitcnt_vscnt null, 0x0
	global_store_b64 v[8:9], v[12:13], off
	v_readfirstlane_b32 m0, v6
	s_sendmsg sendmsg(MSG_INTERRUPT)
.LBB11_103:                             ;   in Loop: Header=BB11_31 Depth=1
	s_or_b32 exec_lo, exec_lo, s1
	v_add_co_u32 v6, vcc_lo, v30, v36
	v_add_co_ci_u32_e32 v7, vcc_lo, 0, v31, vcc_lo
	s_branch .LBB11_107
	.p2align	6
.LBB11_104:                             ;   in Loop: Header=BB11_107 Depth=2
	s_or_b32 exec_lo, exec_lo, s1
	s_delay_alu instid0(VALU_DEP_1) | instskip(NEXT) | instid1(VALU_DEP_1)
	v_readfirstlane_b32 s1, v8
	s_cmp_eq_u32 s1, 0
	s_cbranch_scc1 .LBB11_106
; %bb.105:                              ;   in Loop: Header=BB11_107 Depth=2
	s_sleep 1
	s_cbranch_execnz .LBB11_107
	s_branch .LBB11_109
	.p2align	6
.LBB11_106:                             ;   in Loop: Header=BB11_31 Depth=1
	s_branch .LBB11_109
.LBB11_107:                             ;   Parent Loop BB11_31 Depth=1
                                        ; =>  This Inner Loop Header: Depth=2
	v_mov_b32_e32 v8, 1
	s_and_saveexec_b32 s1, s0
	s_cbranch_execz .LBB11_104
; %bb.108:                              ;   in Loop: Header=BB11_107 Depth=2
	global_load_b32 v8, v[34:35], off offset:20 glc
	s_waitcnt vmcnt(0)
	buffer_gl1_inv
	buffer_gl0_inv
	v_and_b32_e32 v8, 1, v8
	s_branch .LBB11_104
.LBB11_109:                             ;   in Loop: Header=BB11_31 Depth=1
	global_load_b128 v[6:9], v[6:7], off
	s_and_saveexec_b32 s1, s0
	s_cbranch_execz .LBB11_30
; %bb.110:                              ;   in Loop: Header=BB11_31 Depth=1
	s_clause 0x2
	global_load_b64 v[8:9], v13, s[2:3] offset:40
	global_load_b64 v[20:21], v13, s[2:3] offset:24 glc
	global_load_b64 v[18:19], v13, s[2:3]
	s_waitcnt vmcnt(2)
	v_add_co_u32 v12, vcc_lo, v8, 1
	v_add_co_ci_u32_e32 v22, vcc_lo, 0, v9, vcc_lo
	s_delay_alu instid0(VALU_DEP_2) | instskip(NEXT) | instid1(VALU_DEP_2)
	v_add_co_u32 v16, vcc_lo, v12, s4
	v_add_co_ci_u32_e32 v17, vcc_lo, s5, v22, vcc_lo
	s_delay_alu instid0(VALU_DEP_1) | instskip(SKIP_1) | instid1(VALU_DEP_1)
	v_cmp_eq_u64_e32 vcc_lo, 0, v[16:17]
	v_dual_cndmask_b32 v17, v17, v22 :: v_dual_cndmask_b32 v16, v16, v12
	v_and_b32_e32 v9, v17, v9
	s_delay_alu instid0(VALU_DEP_2) | instskip(NEXT) | instid1(VALU_DEP_1)
	v_and_b32_e32 v8, v16, v8
	v_mul_hi_u32 v12, v8, 24
	v_mul_lo_u32 v8, v8, 24
	s_waitcnt vmcnt(0)
	s_delay_alu instid0(VALU_DEP_1) | instskip(SKIP_2) | instid1(VALU_DEP_1)
	v_add_co_u32 v8, vcc_lo, v18, v8
	v_mov_b32_e32 v18, v20
	v_mul_lo_u32 v9, v9, 24
	v_add_nc_u32_e32 v9, v12, v9
	s_delay_alu instid0(VALU_DEP_1)
	v_add_co_ci_u32_e32 v9, vcc_lo, v19, v9, vcc_lo
	v_mov_b32_e32 v19, v21
	global_store_b64 v[8:9], v[20:21], off
	s_waitcnt_vscnt null, 0x0
	global_atomic_cmpswap_b64 v[18:19], v13, v[16:19], s[2:3] offset:24 glc
	s_waitcnt vmcnt(0)
	v_cmp_ne_u64_e32 vcc_lo, v[18:19], v[20:21]
	s_and_b32 exec_lo, exec_lo, vcc_lo
	s_cbranch_execz .LBB11_30
; %bb.111:                              ;   in Loop: Header=BB11_31 Depth=1
	s_mov_b32 s0, 0
.LBB11_112:                             ;   Parent Loop BB11_31 Depth=1
                                        ; =>  This Inner Loop Header: Depth=2
	s_sleep 1
	global_store_b64 v[8:9], v[18:19], off
	s_waitcnt_vscnt null, 0x0
	global_atomic_cmpswap_b64 v[20:21], v13, v[16:19], s[2:3] offset:24 glc
	s_waitcnt vmcnt(0)
	v_cmp_eq_u64_e32 vcc_lo, v[20:21], v[18:19]
	v_dual_mov_b32 v18, v20 :: v_dual_mov_b32 v19, v21
	s_or_b32 s0, vcc_lo, s0
	s_delay_alu instid0(SALU_CYCLE_1)
	s_and_not1_b32 exec_lo, exec_lo, s0
	s_cbranch_execnz .LBB11_112
	s_branch .LBB11_30
.LBB11_113:
                                        ; implicit-def: $vgpr6_vgpr7
	s_cbranch_execnz .LBB11_115
	s_branch .LBB11_142
.LBB11_114:
	s_or_b32 exec_lo, exec_lo, s10
	s_branch .LBB11_142
.LBB11_115:
	v_readfirstlane_b32 s0, v37
	v_mov_b32_e32 v1, 0
	v_mov_b32_e32 v2, 0
	s_delay_alu instid0(VALU_DEP_3) | instskip(NEXT) | instid1(VALU_DEP_1)
	v_cmp_eq_u32_e64 s0, s0, v37
	s_and_saveexec_b32 s1, s0
	s_cbranch_execz .LBB11_121
; %bb.116:
	v_mov_b32_e32 v3, 0
	s_mov_b32 s4, exec_lo
	global_load_b64 v[8:9], v3, s[2:3] offset:24 glc
	s_waitcnt vmcnt(0)
	buffer_gl1_inv
	buffer_gl0_inv
	s_clause 0x1
	global_load_b64 v[1:2], v3, s[2:3] offset:40
	global_load_b64 v[6:7], v3, s[2:3]
	s_waitcnt vmcnt(1)
	v_and_b32_e32 v2, v2, v9
	v_and_b32_e32 v1, v1, v8
	s_delay_alu instid0(VALU_DEP_2) | instskip(NEXT) | instid1(VALU_DEP_2)
	v_mul_lo_u32 v2, v2, 24
	v_mul_hi_u32 v12, v1, 24
	v_mul_lo_u32 v1, v1, 24
	s_delay_alu instid0(VALU_DEP_2) | instskip(SKIP_1) | instid1(VALU_DEP_2)
	v_add_nc_u32_e32 v2, v12, v2
	s_waitcnt vmcnt(0)
	v_add_co_u32 v1, vcc_lo, v6, v1
	s_delay_alu instid0(VALU_DEP_2)
	v_add_co_ci_u32_e32 v2, vcc_lo, v7, v2, vcc_lo
	global_load_b64 v[6:7], v[1:2], off glc
	s_waitcnt vmcnt(0)
	global_atomic_cmpswap_b64 v[1:2], v3, v[6:9], s[2:3] offset:24 glc
	s_waitcnt vmcnt(0)
	buffer_gl1_inv
	buffer_gl0_inv
	v_cmpx_ne_u64_e64 v[1:2], v[8:9]
	s_cbranch_execz .LBB11_120
; %bb.117:
	s_mov_b32 s5, 0
	.p2align	6
.LBB11_118:                             ; =>This Inner Loop Header: Depth=1
	s_sleep 1
	s_clause 0x1
	global_load_b64 v[6:7], v3, s[2:3] offset:40
	global_load_b64 v[12:13], v3, s[2:3]
	v_dual_mov_b32 v9, v2 :: v_dual_mov_b32 v8, v1
	s_waitcnt vmcnt(1)
	s_delay_alu instid0(VALU_DEP_1) | instskip(SKIP_1) | instid1(VALU_DEP_1)
	v_and_b32_e32 v6, v6, v8
	s_waitcnt vmcnt(0)
	v_mad_u64_u32 v[1:2], null, v6, 24, v[12:13]
	v_and_b32_e32 v12, v7, v9
	s_delay_alu instid0(VALU_DEP_1) | instskip(NEXT) | instid1(VALU_DEP_1)
	v_mad_u64_u32 v[6:7], null, v12, 24, v[2:3]
	v_mov_b32_e32 v2, v6
	global_load_b64 v[6:7], v[1:2], off glc
	s_waitcnt vmcnt(0)
	global_atomic_cmpswap_b64 v[1:2], v3, v[6:9], s[2:3] offset:24 glc
	s_waitcnt vmcnt(0)
	buffer_gl1_inv
	buffer_gl0_inv
	v_cmp_eq_u64_e32 vcc_lo, v[1:2], v[8:9]
	s_or_b32 s5, vcc_lo, s5
	s_delay_alu instid0(SALU_CYCLE_1)
	s_and_not1_b32 exec_lo, exec_lo, s5
	s_cbranch_execnz .LBB11_118
; %bb.119:
	s_or_b32 exec_lo, exec_lo, s5
.LBB11_120:
	s_delay_alu instid0(SALU_CYCLE_1)
	s_or_b32 exec_lo, exec_lo, s4
.LBB11_121:
	s_delay_alu instid0(SALU_CYCLE_1)
	s_or_b32 exec_lo, exec_lo, s1
	v_mov_b32_e32 v12, 0
	v_readfirstlane_b32 s4, v1
	v_readfirstlane_b32 s5, v2
	s_mov_b32 s1, exec_lo
	s_clause 0x1
	global_load_b64 v[13:14], v12, s[2:3] offset:40
	global_load_b128 v[6:9], v12, s[2:3]
	s_waitcnt vmcnt(1)
	v_readfirstlane_b32 s6, v13
	v_readfirstlane_b32 s7, v14
	s_delay_alu instid0(VALU_DEP_1) | instskip(NEXT) | instid1(SALU_CYCLE_1)
	s_and_b64 s[6:7], s[4:5], s[6:7]
	s_mul_i32 s10, s7, 24
	s_mul_hi_u32 s11, s6, 24
	s_mul_i32 s12, s6, 24
	s_add_i32 s11, s11, s10
	s_waitcnt vmcnt(0)
	v_add_co_u32 v1, vcc_lo, v6, s12
	v_add_co_ci_u32_e32 v2, vcc_lo, s11, v7, vcc_lo
	s_and_saveexec_b32 s10, s0
	s_cbranch_execz .LBB11_123
; %bb.122:
	v_dual_mov_b32 v13, s1 :: v_dual_mov_b32 v14, v12
	v_dual_mov_b32 v15, 2 :: v_dual_mov_b32 v16, 1
	global_store_b128 v[1:2], v[13:16], off offset:8
.LBB11_123:
	s_or_b32 exec_lo, exec_lo, s10
	s_lshl_b64 s[6:7], s[6:7], 12
	s_mov_b32 s12, 0
	v_add_co_u32 v3, vcc_lo, v8, s6
	v_add_co_ci_u32_e32 v8, vcc_lo, s7, v9, vcc_lo
	s_mov_b32 s15, s12
	s_delay_alu instid0(VALU_DEP_2)
	v_add_co_u32 v14, vcc_lo, v3, v36
	s_mov_b32 s13, s12
	s_mov_b32 s14, s12
	v_and_or_b32 v10, 0xffffff1f, v10, 32
	v_mov_b32_e32 v13, v12
	v_readfirstlane_b32 s6, v3
	v_readfirstlane_b32 s7, v8
	v_dual_mov_b32 v19, s15 :: v_dual_mov_b32 v16, s12
	v_add_co_ci_u32_e32 v15, vcc_lo, 0, v8, vcc_lo
	v_dual_mov_b32 v18, s14 :: v_dual_mov_b32 v17, s13
	s_clause 0x3
	global_store_b128 v36, v[10:13], s[6:7]
	global_store_b128 v36, v[16:19], s[6:7] offset:16
	global_store_b128 v36, v[16:19], s[6:7] offset:32
	;; [unrolled: 1-line block ×3, first 2 shown]
	s_and_saveexec_b32 s1, s0
	s_cbranch_execz .LBB11_131
; %bb.124:
	v_dual_mov_b32 v3, 0 :: v_dual_mov_b32 v16, s4
	v_mov_b32_e32 v17, s5
	s_clause 0x1
	global_load_b64 v[18:19], v3, s[2:3] offset:32 glc
	global_load_b64 v[8:9], v3, s[2:3] offset:40
	s_waitcnt vmcnt(0)
	v_readfirstlane_b32 s6, v8
	v_readfirstlane_b32 s7, v9
	s_delay_alu instid0(VALU_DEP_1) | instskip(NEXT) | instid1(SALU_CYCLE_1)
	s_and_b64 s[6:7], s[6:7], s[4:5]
	s_mul_i32 s7, s7, 24
	s_mul_hi_u32 s10, s6, 24
	s_mul_i32 s6, s6, 24
	s_add_i32 s10, s10, s7
	v_add_co_u32 v10, vcc_lo, v6, s6
	v_add_co_ci_u32_e32 v11, vcc_lo, s10, v7, vcc_lo
	s_mov_b32 s6, exec_lo
	global_store_b64 v[10:11], v[18:19], off
	s_waitcnt_vscnt null, 0x0
	global_atomic_cmpswap_b64 v[8:9], v3, v[16:19], s[2:3] offset:32 glc
	s_waitcnt vmcnt(0)
	v_cmpx_ne_u64_e64 v[8:9], v[18:19]
	s_cbranch_execz .LBB11_127
; %bb.125:
	s_mov_b32 s7, 0
.LBB11_126:                             ; =>This Inner Loop Header: Depth=1
	v_dual_mov_b32 v6, s4 :: v_dual_mov_b32 v7, s5
	s_sleep 1
	global_store_b64 v[10:11], v[8:9], off
	s_waitcnt_vscnt null, 0x0
	global_atomic_cmpswap_b64 v[6:7], v3, v[6:9], s[2:3] offset:32 glc
	s_waitcnt vmcnt(0)
	v_cmp_eq_u64_e32 vcc_lo, v[6:7], v[8:9]
	v_dual_mov_b32 v9, v7 :: v_dual_mov_b32 v8, v6
	s_or_b32 s7, vcc_lo, s7
	s_delay_alu instid0(SALU_CYCLE_1)
	s_and_not1_b32 exec_lo, exec_lo, s7
	s_cbranch_execnz .LBB11_126
.LBB11_127:
	s_or_b32 exec_lo, exec_lo, s6
	v_mov_b32_e32 v9, 0
	s_mov_b32 s7, exec_lo
	s_mov_b32 s6, exec_lo
	v_mbcnt_lo_u32_b32 v3, s7, 0
	global_load_b64 v[6:7], v9, s[2:3] offset:16
	v_cmpx_eq_u32_e32 0, v3
	s_cbranch_execz .LBB11_129
; %bb.128:
	s_bcnt1_i32_b32 s7, s7
	s_delay_alu instid0(SALU_CYCLE_1)
	v_mov_b32_e32 v8, s7
	s_waitcnt vmcnt(0)
	global_atomic_add_u64 v[6:7], v[8:9], off offset:8
.LBB11_129:
	s_or_b32 exec_lo, exec_lo, s6
	s_waitcnt vmcnt(0)
	global_load_b64 v[8:9], v[6:7], off offset:16
	s_waitcnt vmcnt(0)
	v_cmp_eq_u64_e32 vcc_lo, 0, v[8:9]
	s_cbranch_vccnz .LBB11_131
; %bb.130:
	global_load_b32 v6, v[6:7], off offset:24
	v_mov_b32_e32 v7, 0
	s_waitcnt vmcnt(0)
	v_and_b32_e32 v3, 0xffffff, v6
	s_waitcnt_vscnt null, 0x0
	global_store_b64 v[8:9], v[6:7], off
	v_readfirstlane_b32 m0, v3
	s_sendmsg sendmsg(MSG_INTERRUPT)
.LBB11_131:
	s_or_b32 exec_lo, exec_lo, s1
	s_branch .LBB11_135
	.p2align	6
.LBB11_132:                             ;   in Loop: Header=BB11_135 Depth=1
	s_or_b32 exec_lo, exec_lo, s1
	s_delay_alu instid0(VALU_DEP_1) | instskip(NEXT) | instid1(VALU_DEP_1)
	v_readfirstlane_b32 s1, v3
	s_cmp_eq_u32 s1, 0
	s_cbranch_scc1 .LBB11_134
; %bb.133:                              ;   in Loop: Header=BB11_135 Depth=1
	s_sleep 1
	s_cbranch_execnz .LBB11_135
	s_branch .LBB11_137
	.p2align	6
.LBB11_134:
	s_branch .LBB11_137
.LBB11_135:                             ; =>This Inner Loop Header: Depth=1
	v_mov_b32_e32 v3, 1
	s_and_saveexec_b32 s1, s0
	s_cbranch_execz .LBB11_132
; %bb.136:                              ;   in Loop: Header=BB11_135 Depth=1
	global_load_b32 v3, v[1:2], off offset:20 glc
	s_waitcnt vmcnt(0)
	buffer_gl1_inv
	buffer_gl0_inv
	v_and_b32_e32 v3, 1, v3
	s_branch .LBB11_132
.LBB11_137:
	global_load_b64 v[6:7], v[14:15], off
	s_and_saveexec_b32 s1, s0
	s_cbranch_execz .LBB11_141
; %bb.138:
	v_mov_b32_e32 v3, 0
	s_clause 0x2
	global_load_b64 v[1:2], v3, s[2:3] offset:40
	global_load_b64 v[12:13], v3, s[2:3] offset:24 glc
	global_load_b64 v[10:11], v3, s[2:3]
	s_waitcnt vmcnt(2)
	v_add_co_u32 v14, vcc_lo, v1, 1
	v_add_co_ci_u32_e32 v15, vcc_lo, 0, v2, vcc_lo
	s_delay_alu instid0(VALU_DEP_2) | instskip(NEXT) | instid1(VALU_DEP_2)
	v_add_co_u32 v8, vcc_lo, v14, s4
	v_add_co_ci_u32_e32 v9, vcc_lo, s5, v15, vcc_lo
	s_delay_alu instid0(VALU_DEP_1) | instskip(SKIP_1) | instid1(VALU_DEP_1)
	v_cmp_eq_u64_e32 vcc_lo, 0, v[8:9]
	v_cndmask_b32_e32 v8, v8, v14, vcc_lo
	v_and_b32_e32 v1, v8, v1
	s_delay_alu instid0(VALU_DEP_1) | instskip(SKIP_2) | instid1(VALU_DEP_2)
	v_mul_hi_u32 v14, v1, 24
	v_cndmask_b32_e32 v9, v9, v15, vcc_lo
	v_mul_lo_u32 v1, v1, 24
	v_and_b32_e32 v2, v9, v2
	s_waitcnt vmcnt(0)
	s_delay_alu instid0(VALU_DEP_2) | instskip(NEXT) | instid1(VALU_DEP_2)
	v_add_co_u32 v1, vcc_lo, v10, v1
	v_mul_lo_u32 v2, v2, 24
	v_mov_b32_e32 v10, v12
	s_delay_alu instid0(VALU_DEP_2) | instskip(NEXT) | instid1(VALU_DEP_1)
	v_add_nc_u32_e32 v2, v14, v2
	v_add_co_ci_u32_e32 v2, vcc_lo, v11, v2, vcc_lo
	v_mov_b32_e32 v11, v13
	global_store_b64 v[1:2], v[12:13], off
	s_waitcnt_vscnt null, 0x0
	global_atomic_cmpswap_b64 v[10:11], v3, v[8:11], s[2:3] offset:24 glc
	s_waitcnt vmcnt(0)
	v_cmp_ne_u64_e32 vcc_lo, v[10:11], v[12:13]
	s_and_b32 exec_lo, exec_lo, vcc_lo
	s_cbranch_execz .LBB11_141
; %bb.139:
	s_mov_b32 s0, 0
.LBB11_140:                             ; =>This Inner Loop Header: Depth=1
	s_sleep 1
	global_store_b64 v[1:2], v[10:11], off
	s_waitcnt_vscnt null, 0x0
	global_atomic_cmpswap_b64 v[12:13], v3, v[8:11], s[2:3] offset:24 glc
	s_waitcnt vmcnt(0)
	v_cmp_eq_u64_e32 vcc_lo, v[12:13], v[10:11]
	v_dual_mov_b32 v10, v12 :: v_dual_mov_b32 v11, v13
	s_or_b32 s0, vcc_lo, s0
	s_delay_alu instid0(SALU_CYCLE_1)
	s_and_not1_b32 exec_lo, exec_lo, s0
	s_cbranch_execnz .LBB11_140
.LBB11_141:
	s_or_b32 exec_lo, exec_lo, s1
.LBB11_142:
	s_getpc_b64 s[4:5]
	s_add_u32 s4, s4, .str.2@rel32@lo+4
	s_addc_u32 s5, s5, .str.2@rel32@hi+12
	s_delay_alu instid0(SALU_CYCLE_1)
	s_cmp_lg_u64 s[4:5], 0
	s_cbranch_scc0 .LBB11_220
; %bb.143:
	s_getpc_b64 s[0:1]
	s_add_u32 s0, s0, .str.2@rel32@lo+79
	s_addc_u32 s1, s1, .str.2@rel32@hi+87
	s_waitcnt vmcnt(0)
	v_dual_mov_b32 v12, 0 :: v_dual_and_b32 v3, 2, v6
	v_dual_mov_b32 v9, v7 :: v_dual_and_b32 v8, -3, v6
	v_dual_mov_b32 v13, 2 :: v_dual_mov_b32 v14, 1
	s_sub_i32 s6, s0, s4
	s_delay_alu instid0(SALU_CYCLE_1)
	s_ashr_i32 s7, s6, 31
	s_branch .LBB11_145
.LBB11_144:                             ;   in Loop: Header=BB11_145 Depth=1
	s_or_b32 exec_lo, exec_lo, s1
	s_sub_u32 s6, s6, s10
	s_subb_u32 s7, s7, s11
	s_add_u32 s4, s4, s10
	s_addc_u32 s5, s5, s11
	s_cmp_lg_u64 s[6:7], 0
	s_cbranch_scc0 .LBB11_221
.LBB11_145:                             ; =>This Loop Header: Depth=1
                                        ;     Child Loop BB11_154 Depth 2
                                        ;     Child Loop BB11_150 Depth 2
                                        ;     Child Loop BB11_162 Depth 2
                                        ;     Child Loop BB11_169 Depth 2
                                        ;     Child Loop BB11_176 Depth 2
                                        ;     Child Loop BB11_183 Depth 2
                                        ;     Child Loop BB11_190 Depth 2
                                        ;     Child Loop BB11_197 Depth 2
                                        ;     Child Loop BB11_205 Depth 2
                                        ;     Child Loop BB11_214 Depth 2
                                        ;     Child Loop BB11_219 Depth 2
	v_cmp_lt_u64_e64 s0, s[6:7], 56
	v_cmp_gt_u64_e64 s1, s[6:7], 7
                                        ; implicit-def: $vgpr17_vgpr18
                                        ; implicit-def: $sgpr16
	s_delay_alu instid0(VALU_DEP_2) | instskip(SKIP_2) | instid1(VALU_DEP_1)
	s_and_b32 s0, s0, exec_lo
	s_cselect_b32 s11, s7, 0
	s_cselect_b32 s10, s6, 56
	s_and_b32 vcc_lo, exec_lo, s1
	s_mov_b32 s0, -1
	s_cbranch_vccz .LBB11_152
; %bb.146:                              ;   in Loop: Header=BB11_145 Depth=1
	s_and_not1_b32 vcc_lo, exec_lo, s0
	s_mov_b64 s[0:1], s[4:5]
	s_cbranch_vccz .LBB11_156
.LBB11_147:                             ;   in Loop: Header=BB11_145 Depth=1
	s_cmp_gt_u32 s16, 7
	s_cbranch_scc1 .LBB11_157
.LBB11_148:                             ;   in Loop: Header=BB11_145 Depth=1
	v_mov_b32_e32 v19, 0
	v_mov_b32_e32 v20, 0
	s_cmp_eq_u32 s16, 0
	s_cbranch_scc1 .LBB11_151
; %bb.149:                              ;   in Loop: Header=BB11_145 Depth=1
	s_mov_b64 s[12:13], 0
	s_mov_b64 s[14:15], 0
.LBB11_150:                             ;   Parent Loop BB11_145 Depth=1
                                        ; =>  This Inner Loop Header: Depth=2
	s_delay_alu instid0(SALU_CYCLE_1)
	s_add_u32 s18, s0, s14
	s_addc_u32 s19, s1, s15
	s_add_u32 s14, s14, 1
	global_load_u8 v1, v12, s[18:19]
	s_addc_u32 s15, s15, 0
	s_waitcnt vmcnt(0)
	v_and_b32_e32 v11, 0xffff, v1
	s_delay_alu instid0(VALU_DEP_1) | instskip(SKIP_3) | instid1(VALU_DEP_1)
	v_lshlrev_b64 v[1:2], s12, v[11:12]
	s_add_u32 s12, s12, 8
	s_addc_u32 s13, s13, 0
	s_cmp_lg_u32 s16, s14
	v_or_b32_e32 v19, v1, v19
	s_delay_alu instid0(VALU_DEP_2)
	v_or_b32_e32 v20, v2, v20
	s_cbranch_scc1 .LBB11_150
.LBB11_151:                             ;   in Loop: Header=BB11_145 Depth=1
	s_mov_b32 s17, 0
	s_cbranch_execz .LBB11_158
	s_branch .LBB11_159
.LBB11_152:                             ;   in Loop: Header=BB11_145 Depth=1
	v_mov_b32_e32 v17, 0
	v_mov_b32_e32 v18, 0
	s_cmp_eq_u64 s[6:7], 0
	s_mov_b64 s[0:1], 0
	s_cbranch_scc1 .LBB11_155
; %bb.153:                              ;   in Loop: Header=BB11_145 Depth=1
	v_mov_b32_e32 v17, 0
	v_mov_b32_e32 v18, 0
	s_lshl_b64 s[12:13], s[10:11], 3
	s_mov_b64 s[14:15], s[4:5]
.LBB11_154:                             ;   Parent Loop BB11_145 Depth=1
                                        ; =>  This Inner Loop Header: Depth=2
	global_load_u8 v1, v12, s[14:15]
	s_waitcnt vmcnt(0)
	v_and_b32_e32 v11, 0xffff, v1
	s_delay_alu instid0(VALU_DEP_1)
	v_lshlrev_b64 v[1:2], s0, v[11:12]
	s_add_u32 s0, s0, 8
	s_addc_u32 s1, s1, 0
	s_add_u32 s14, s14, 1
	s_addc_u32 s15, s15, 0
	s_cmp_lg_u32 s12, s0
	v_or_b32_e32 v17, v1, v17
	v_or_b32_e32 v18, v2, v18
	s_cbranch_scc1 .LBB11_154
.LBB11_155:                             ;   in Loop: Header=BB11_145 Depth=1
	s_mov_b32 s16, 0
	s_mov_b64 s[0:1], s[4:5]
	s_cbranch_execnz .LBB11_147
.LBB11_156:                             ;   in Loop: Header=BB11_145 Depth=1
	global_load_b64 v[17:18], v12, s[4:5]
	s_add_i32 s16, s10, -8
	s_add_u32 s0, s4, 8
	s_addc_u32 s1, s5, 0
	s_cmp_gt_u32 s16, 7
	s_cbranch_scc0 .LBB11_148
.LBB11_157:                             ;   in Loop: Header=BB11_145 Depth=1
                                        ; implicit-def: $vgpr19_vgpr20
                                        ; implicit-def: $sgpr17
.LBB11_158:                             ;   in Loop: Header=BB11_145 Depth=1
	global_load_b64 v[19:20], v12, s[0:1]
	s_add_i32 s17, s16, -8
	s_add_u32 s0, s0, 8
	s_addc_u32 s1, s1, 0
.LBB11_159:                             ;   in Loop: Header=BB11_145 Depth=1
	s_cmp_gt_u32 s17, 7
	s_cbranch_scc1 .LBB11_164
; %bb.160:                              ;   in Loop: Header=BB11_145 Depth=1
	v_mov_b32_e32 v21, 0
	v_mov_b32_e32 v22, 0
	s_cmp_eq_u32 s17, 0
	s_cbranch_scc1 .LBB11_163
; %bb.161:                              ;   in Loop: Header=BB11_145 Depth=1
	s_mov_b64 s[12:13], 0
	s_mov_b64 s[14:15], 0
.LBB11_162:                             ;   Parent Loop BB11_145 Depth=1
                                        ; =>  This Inner Loop Header: Depth=2
	s_delay_alu instid0(SALU_CYCLE_1)
	s_add_u32 s18, s0, s14
	s_addc_u32 s19, s1, s15
	s_add_u32 s14, s14, 1
	global_load_u8 v1, v12, s[18:19]
	s_addc_u32 s15, s15, 0
	s_waitcnt vmcnt(0)
	v_and_b32_e32 v11, 0xffff, v1
	s_delay_alu instid0(VALU_DEP_1) | instskip(SKIP_3) | instid1(VALU_DEP_1)
	v_lshlrev_b64 v[1:2], s12, v[11:12]
	s_add_u32 s12, s12, 8
	s_addc_u32 s13, s13, 0
	s_cmp_lg_u32 s17, s14
	v_or_b32_e32 v21, v1, v21
	s_delay_alu instid0(VALU_DEP_2)
	v_or_b32_e32 v22, v2, v22
	s_cbranch_scc1 .LBB11_162
.LBB11_163:                             ;   in Loop: Header=BB11_145 Depth=1
	s_mov_b32 s16, 0
	s_cbranch_execz .LBB11_165
	s_branch .LBB11_166
.LBB11_164:                             ;   in Loop: Header=BB11_145 Depth=1
                                        ; implicit-def: $sgpr16
.LBB11_165:                             ;   in Loop: Header=BB11_145 Depth=1
	global_load_b64 v[21:22], v12, s[0:1]
	s_add_i32 s16, s17, -8
	s_add_u32 s0, s0, 8
	s_addc_u32 s1, s1, 0
.LBB11_166:                             ;   in Loop: Header=BB11_145 Depth=1
	s_cmp_gt_u32 s16, 7
	s_cbranch_scc1 .LBB11_171
; %bb.167:                              ;   in Loop: Header=BB11_145 Depth=1
	v_mov_b32_e32 v23, 0
	v_mov_b32_e32 v24, 0
	s_cmp_eq_u32 s16, 0
	s_cbranch_scc1 .LBB11_170
; %bb.168:                              ;   in Loop: Header=BB11_145 Depth=1
	s_mov_b64 s[12:13], 0
	s_mov_b64 s[14:15], 0
.LBB11_169:                             ;   Parent Loop BB11_145 Depth=1
                                        ; =>  This Inner Loop Header: Depth=2
	s_delay_alu instid0(SALU_CYCLE_1)
	s_add_u32 s18, s0, s14
	s_addc_u32 s19, s1, s15
	s_add_u32 s14, s14, 1
	global_load_u8 v1, v12, s[18:19]
	s_addc_u32 s15, s15, 0
	s_waitcnt vmcnt(0)
	v_and_b32_e32 v11, 0xffff, v1
	s_delay_alu instid0(VALU_DEP_1) | instskip(SKIP_3) | instid1(VALU_DEP_1)
	v_lshlrev_b64 v[1:2], s12, v[11:12]
	s_add_u32 s12, s12, 8
	s_addc_u32 s13, s13, 0
	s_cmp_lg_u32 s16, s14
	v_or_b32_e32 v23, v1, v23
	s_delay_alu instid0(VALU_DEP_2)
	v_or_b32_e32 v24, v2, v24
	s_cbranch_scc1 .LBB11_169
.LBB11_170:                             ;   in Loop: Header=BB11_145 Depth=1
	s_mov_b32 s17, 0
	s_cbranch_execz .LBB11_172
	s_branch .LBB11_173
.LBB11_171:                             ;   in Loop: Header=BB11_145 Depth=1
                                        ; implicit-def: $vgpr23_vgpr24
                                        ; implicit-def: $sgpr17
.LBB11_172:                             ;   in Loop: Header=BB11_145 Depth=1
	global_load_b64 v[23:24], v12, s[0:1]
	s_add_i32 s17, s16, -8
	s_add_u32 s0, s0, 8
	s_addc_u32 s1, s1, 0
.LBB11_173:                             ;   in Loop: Header=BB11_145 Depth=1
	s_cmp_gt_u32 s17, 7
	s_cbranch_scc1 .LBB11_178
; %bb.174:                              ;   in Loop: Header=BB11_145 Depth=1
	v_mov_b32_e32 v25, 0
	v_mov_b32_e32 v26, 0
	s_cmp_eq_u32 s17, 0
	s_cbranch_scc1 .LBB11_177
; %bb.175:                              ;   in Loop: Header=BB11_145 Depth=1
	s_mov_b64 s[12:13], 0
	s_mov_b64 s[14:15], 0
.LBB11_176:                             ;   Parent Loop BB11_145 Depth=1
                                        ; =>  This Inner Loop Header: Depth=2
	s_delay_alu instid0(SALU_CYCLE_1)
	s_add_u32 s18, s0, s14
	s_addc_u32 s19, s1, s15
	s_add_u32 s14, s14, 1
	global_load_u8 v1, v12, s[18:19]
	s_addc_u32 s15, s15, 0
	s_waitcnt vmcnt(0)
	v_and_b32_e32 v11, 0xffff, v1
	s_delay_alu instid0(VALU_DEP_1) | instskip(SKIP_3) | instid1(VALU_DEP_1)
	v_lshlrev_b64 v[1:2], s12, v[11:12]
	s_add_u32 s12, s12, 8
	s_addc_u32 s13, s13, 0
	s_cmp_lg_u32 s17, s14
	v_or_b32_e32 v25, v1, v25
	s_delay_alu instid0(VALU_DEP_2)
	v_or_b32_e32 v26, v2, v26
	s_cbranch_scc1 .LBB11_176
.LBB11_177:                             ;   in Loop: Header=BB11_145 Depth=1
	s_mov_b32 s16, 0
	s_cbranch_execz .LBB11_179
	s_branch .LBB11_180
.LBB11_178:                             ;   in Loop: Header=BB11_145 Depth=1
                                        ; implicit-def: $sgpr16
.LBB11_179:                             ;   in Loop: Header=BB11_145 Depth=1
	global_load_b64 v[25:26], v12, s[0:1]
	s_add_i32 s16, s17, -8
	s_add_u32 s0, s0, 8
	s_addc_u32 s1, s1, 0
.LBB11_180:                             ;   in Loop: Header=BB11_145 Depth=1
	s_cmp_gt_u32 s16, 7
	s_cbranch_scc1 .LBB11_185
; %bb.181:                              ;   in Loop: Header=BB11_145 Depth=1
	v_mov_b32_e32 v27, 0
	v_mov_b32_e32 v28, 0
	s_cmp_eq_u32 s16, 0
	s_cbranch_scc1 .LBB11_184
; %bb.182:                              ;   in Loop: Header=BB11_145 Depth=1
	s_mov_b64 s[12:13], 0
	s_mov_b64 s[14:15], 0
.LBB11_183:                             ;   Parent Loop BB11_145 Depth=1
                                        ; =>  This Inner Loop Header: Depth=2
	s_delay_alu instid0(SALU_CYCLE_1)
	s_add_u32 s18, s0, s14
	s_addc_u32 s19, s1, s15
	s_add_u32 s14, s14, 1
	global_load_u8 v1, v12, s[18:19]
	s_addc_u32 s15, s15, 0
	s_waitcnt vmcnt(0)
	v_and_b32_e32 v11, 0xffff, v1
	s_delay_alu instid0(VALU_DEP_1) | instskip(SKIP_3) | instid1(VALU_DEP_1)
	v_lshlrev_b64 v[1:2], s12, v[11:12]
	s_add_u32 s12, s12, 8
	s_addc_u32 s13, s13, 0
	s_cmp_lg_u32 s16, s14
	v_or_b32_e32 v27, v1, v27
	s_delay_alu instid0(VALU_DEP_2)
	v_or_b32_e32 v28, v2, v28
	s_cbranch_scc1 .LBB11_183
.LBB11_184:                             ;   in Loop: Header=BB11_145 Depth=1
	s_mov_b32 s17, 0
	s_cbranch_execz .LBB11_186
	s_branch .LBB11_187
.LBB11_185:                             ;   in Loop: Header=BB11_145 Depth=1
                                        ; implicit-def: $vgpr27_vgpr28
                                        ; implicit-def: $sgpr17
.LBB11_186:                             ;   in Loop: Header=BB11_145 Depth=1
	global_load_b64 v[27:28], v12, s[0:1]
	s_add_i32 s17, s16, -8
	s_add_u32 s0, s0, 8
	s_addc_u32 s1, s1, 0
.LBB11_187:                             ;   in Loop: Header=BB11_145 Depth=1
	s_cmp_gt_u32 s17, 7
	s_cbranch_scc1 .LBB11_192
; %bb.188:                              ;   in Loop: Header=BB11_145 Depth=1
	v_mov_b32_e32 v29, 0
	v_mov_b32_e32 v30, 0
	s_cmp_eq_u32 s17, 0
	s_cbranch_scc1 .LBB11_191
; %bb.189:                              ;   in Loop: Header=BB11_145 Depth=1
	s_mov_b64 s[12:13], 0
	s_mov_b64 s[14:15], s[0:1]
.LBB11_190:                             ;   Parent Loop BB11_145 Depth=1
                                        ; =>  This Inner Loop Header: Depth=2
	global_load_u8 v1, v12, s[14:15]
	s_add_i32 s17, s17, -1
	s_waitcnt vmcnt(0)
	v_and_b32_e32 v11, 0xffff, v1
	s_delay_alu instid0(VALU_DEP_1)
	v_lshlrev_b64 v[1:2], s12, v[11:12]
	s_add_u32 s12, s12, 8
	s_addc_u32 s13, s13, 0
	s_add_u32 s14, s14, 1
	s_addc_u32 s15, s15, 0
	s_cmp_lg_u32 s17, 0
	v_or_b32_e32 v29, v1, v29
	v_or_b32_e32 v30, v2, v30
	s_cbranch_scc1 .LBB11_190
.LBB11_191:                             ;   in Loop: Header=BB11_145 Depth=1
	s_cbranch_execz .LBB11_193
	s_branch .LBB11_194
.LBB11_192:                             ;   in Loop: Header=BB11_145 Depth=1
.LBB11_193:                             ;   in Loop: Header=BB11_145 Depth=1
	global_load_b64 v[29:30], v12, s[0:1]
.LBB11_194:                             ;   in Loop: Header=BB11_145 Depth=1
	v_readfirstlane_b32 s0, v37
	v_mov_b32_e32 v1, 0
	v_mov_b32_e32 v2, 0
	s_delay_alu instid0(VALU_DEP_3) | instskip(NEXT) | instid1(VALU_DEP_1)
	v_cmp_eq_u32_e64 s0, s0, v37
	s_and_saveexec_b32 s1, s0
	s_cbranch_execz .LBB11_200
; %bb.195:                              ;   in Loop: Header=BB11_145 Depth=1
	global_load_b64 v[33:34], v12, s[2:3] offset:24 glc
	s_waitcnt vmcnt(0)
	buffer_gl1_inv
	buffer_gl0_inv
	s_clause 0x1
	global_load_b64 v[1:2], v12, s[2:3] offset:40
	global_load_b64 v[10:11], v12, s[2:3]
	s_mov_b32 s12, exec_lo
	s_waitcnt vmcnt(1)
	v_and_b32_e32 v2, v2, v34
	v_and_b32_e32 v1, v1, v33
	s_delay_alu instid0(VALU_DEP_2) | instskip(NEXT) | instid1(VALU_DEP_2)
	v_mul_lo_u32 v2, v2, 24
	v_mul_hi_u32 v15, v1, 24
	v_mul_lo_u32 v1, v1, 24
	s_delay_alu instid0(VALU_DEP_2) | instskip(SKIP_1) | instid1(VALU_DEP_2)
	v_add_nc_u32_e32 v2, v15, v2
	s_waitcnt vmcnt(0)
	v_add_co_u32 v1, vcc_lo, v10, v1
	s_delay_alu instid0(VALU_DEP_2)
	v_add_co_ci_u32_e32 v2, vcc_lo, v11, v2, vcc_lo
	global_load_b64 v[31:32], v[1:2], off glc
	s_waitcnt vmcnt(0)
	global_atomic_cmpswap_b64 v[1:2], v12, v[31:34], s[2:3] offset:24 glc
	s_waitcnt vmcnt(0)
	buffer_gl1_inv
	buffer_gl0_inv
	v_cmpx_ne_u64_e64 v[1:2], v[33:34]
	s_cbranch_execz .LBB11_199
; %bb.196:                              ;   in Loop: Header=BB11_145 Depth=1
	s_mov_b32 s13, 0
	.p2align	6
.LBB11_197:                             ;   Parent Loop BB11_145 Depth=1
                                        ; =>  This Inner Loop Header: Depth=2
	s_sleep 1
	s_clause 0x1
	global_load_b64 v[10:11], v12, s[2:3] offset:40
	global_load_b64 v[15:16], v12, s[2:3]
	v_dual_mov_b32 v34, v2 :: v_dual_mov_b32 v33, v1
	s_waitcnt vmcnt(1)
	s_delay_alu instid0(VALU_DEP_1) | instskip(SKIP_1) | instid1(VALU_DEP_1)
	v_and_b32_e32 v10, v10, v33
	s_waitcnt vmcnt(0)
	v_mad_u64_u32 v[1:2], null, v10, 24, v[15:16]
	v_and_b32_e32 v15, v11, v34
	s_delay_alu instid0(VALU_DEP_1) | instskip(NEXT) | instid1(VALU_DEP_1)
	v_mad_u64_u32 v[10:11], null, v15, 24, v[2:3]
	v_mov_b32_e32 v2, v10
	global_load_b64 v[31:32], v[1:2], off glc
	s_waitcnt vmcnt(0)
	global_atomic_cmpswap_b64 v[1:2], v12, v[31:34], s[2:3] offset:24 glc
	s_waitcnt vmcnt(0)
	buffer_gl1_inv
	buffer_gl0_inv
	v_cmp_eq_u64_e32 vcc_lo, v[1:2], v[33:34]
	s_or_b32 s13, vcc_lo, s13
	s_delay_alu instid0(SALU_CYCLE_1)
	s_and_not1_b32 exec_lo, exec_lo, s13
	s_cbranch_execnz .LBB11_197
; %bb.198:                              ;   in Loop: Header=BB11_145 Depth=1
	s_or_b32 exec_lo, exec_lo, s13
.LBB11_199:                             ;   in Loop: Header=BB11_145 Depth=1
	s_delay_alu instid0(SALU_CYCLE_1)
	s_or_b32 exec_lo, exec_lo, s12
.LBB11_200:                             ;   in Loop: Header=BB11_145 Depth=1
	s_delay_alu instid0(SALU_CYCLE_1)
	s_or_b32 exec_lo, exec_lo, s1
	s_clause 0x1
	global_load_b64 v[10:11], v12, s[2:3] offset:40
	global_load_b128 v[31:34], v12, s[2:3]
	v_readfirstlane_b32 s12, v1
	v_readfirstlane_b32 s13, v2
	s_mov_b32 s1, exec_lo
	s_waitcnt vmcnt(1)
	v_readfirstlane_b32 s14, v10
	v_readfirstlane_b32 s15, v11
	s_delay_alu instid0(VALU_DEP_1) | instskip(NEXT) | instid1(SALU_CYCLE_1)
	s_and_b64 s[14:15], s[12:13], s[14:15]
	s_mul_i32 s16, s15, 24
	s_mul_hi_u32 s17, s14, 24
	s_mul_i32 s18, s14, 24
	s_add_i32 s17, s17, s16
	s_waitcnt vmcnt(0)
	v_add_co_u32 v1, vcc_lo, v31, s18
	v_add_co_ci_u32_e32 v2, vcc_lo, s17, v32, vcc_lo
	s_and_saveexec_b32 s16, s0
	s_cbranch_execz .LBB11_202
; %bb.201:                              ;   in Loop: Header=BB11_145 Depth=1
	v_mov_b32_e32 v11, s1
	global_store_b128 v[1:2], v[11:14], off offset:8
.LBB11_202:                             ;   in Loop: Header=BB11_145 Depth=1
	s_or_b32 exec_lo, exec_lo, s16
	s_lshl_b64 s[14:15], s[14:15], 12
	v_cmp_gt_u64_e64 vcc_lo, s[6:7], 56
	v_or_b32_e32 v11, v8, v3
	v_add_co_u32 v33, s1, v33, s14
	s_delay_alu instid0(VALU_DEP_1)
	v_add_co_ci_u32_e64 v34, s1, s15, v34, s1
	s_lshl_b32 s1, s10, 2
	v_or_b32_e32 v10, 0, v9
	v_cndmask_b32_e32 v8, v11, v8, vcc_lo
	s_add_i32 s1, s1, 28
	v_readfirstlane_b32 s14, v33
	s_and_b32 s1, s1, 0x1e0
	v_cndmask_b32_e32 v16, v10, v9, vcc_lo
	v_readfirstlane_b32 s15, v34
	v_and_or_b32 v15, 0xffffff1f, v8, s1
	s_clause 0x3
	global_store_b128 v36, v[15:18], s[14:15]
	global_store_b128 v36, v[19:22], s[14:15] offset:16
	global_store_b128 v36, v[23:26], s[14:15] offset:32
	;; [unrolled: 1-line block ×3, first 2 shown]
	s_and_saveexec_b32 s1, s0
	s_cbranch_execz .LBB11_210
; %bb.203:                              ;   in Loop: Header=BB11_145 Depth=1
	s_clause 0x1
	global_load_b64 v[19:20], v12, s[2:3] offset:32 glc
	global_load_b64 v[8:9], v12, s[2:3] offset:40
	v_dual_mov_b32 v17, s12 :: v_dual_mov_b32 v18, s13
	s_waitcnt vmcnt(0)
	v_readfirstlane_b32 s14, v8
	v_readfirstlane_b32 s15, v9
	s_delay_alu instid0(VALU_DEP_1) | instskip(NEXT) | instid1(SALU_CYCLE_1)
	s_and_b64 s[14:15], s[14:15], s[12:13]
	s_mul_i32 s15, s15, 24
	s_mul_hi_u32 s16, s14, 24
	s_mul_i32 s14, s14, 24
	s_add_i32 s16, s16, s15
	v_add_co_u32 v15, vcc_lo, v31, s14
	v_add_co_ci_u32_e32 v16, vcc_lo, s16, v32, vcc_lo
	s_mov_b32 s14, exec_lo
	global_store_b64 v[15:16], v[19:20], off
	s_waitcnt_vscnt null, 0x0
	global_atomic_cmpswap_b64 v[10:11], v12, v[17:20], s[2:3] offset:32 glc
	s_waitcnt vmcnt(0)
	v_cmpx_ne_u64_e64 v[10:11], v[19:20]
	s_cbranch_execz .LBB11_206
; %bb.204:                              ;   in Loop: Header=BB11_145 Depth=1
	s_mov_b32 s15, 0
.LBB11_205:                             ;   Parent Loop BB11_145 Depth=1
                                        ; =>  This Inner Loop Header: Depth=2
	v_dual_mov_b32 v8, s12 :: v_dual_mov_b32 v9, s13
	s_sleep 1
	global_store_b64 v[15:16], v[10:11], off
	s_waitcnt_vscnt null, 0x0
	global_atomic_cmpswap_b64 v[8:9], v12, v[8:11], s[2:3] offset:32 glc
	s_waitcnt vmcnt(0)
	v_cmp_eq_u64_e32 vcc_lo, v[8:9], v[10:11]
	v_dual_mov_b32 v11, v9 :: v_dual_mov_b32 v10, v8
	s_or_b32 s15, vcc_lo, s15
	s_delay_alu instid0(SALU_CYCLE_1)
	s_and_not1_b32 exec_lo, exec_lo, s15
	s_cbranch_execnz .LBB11_205
.LBB11_206:                             ;   in Loop: Header=BB11_145 Depth=1
	s_or_b32 exec_lo, exec_lo, s14
	global_load_b64 v[8:9], v12, s[2:3] offset:16
	s_mov_b32 s15, exec_lo
	s_mov_b32 s14, exec_lo
	v_mbcnt_lo_u32_b32 v10, s15, 0
	s_delay_alu instid0(VALU_DEP_1)
	v_cmpx_eq_u32_e32 0, v10
	s_cbranch_execz .LBB11_208
; %bb.207:                              ;   in Loop: Header=BB11_145 Depth=1
	s_bcnt1_i32_b32 s15, s15
	s_delay_alu instid0(SALU_CYCLE_1)
	v_mov_b32_e32 v11, s15
	s_waitcnt vmcnt(0)
	global_atomic_add_u64 v[8:9], v[11:12], off offset:8
.LBB11_208:                             ;   in Loop: Header=BB11_145 Depth=1
	s_or_b32 exec_lo, exec_lo, s14
	s_waitcnt vmcnt(0)
	global_load_b64 v[15:16], v[8:9], off offset:16
	s_waitcnt vmcnt(0)
	v_cmp_eq_u64_e32 vcc_lo, 0, v[15:16]
	s_cbranch_vccnz .LBB11_210
; %bb.209:                              ;   in Loop: Header=BB11_145 Depth=1
	global_load_b32 v11, v[8:9], off offset:24
	s_waitcnt vmcnt(0)
	v_and_b32_e32 v8, 0xffffff, v11
	s_waitcnt_vscnt null, 0x0
	global_store_b64 v[15:16], v[11:12], off
	v_readfirstlane_b32 m0, v8
	s_sendmsg sendmsg(MSG_INTERRUPT)
.LBB11_210:                             ;   in Loop: Header=BB11_145 Depth=1
	s_or_b32 exec_lo, exec_lo, s1
	v_add_co_u32 v8, vcc_lo, v33, v36
	v_add_co_ci_u32_e32 v9, vcc_lo, 0, v34, vcc_lo
	s_branch .LBB11_214
	.p2align	6
.LBB11_211:                             ;   in Loop: Header=BB11_214 Depth=2
	s_or_b32 exec_lo, exec_lo, s1
	s_delay_alu instid0(VALU_DEP_1) | instskip(NEXT) | instid1(VALU_DEP_1)
	v_readfirstlane_b32 s1, v10
	s_cmp_eq_u32 s1, 0
	s_cbranch_scc1 .LBB11_213
; %bb.212:                              ;   in Loop: Header=BB11_214 Depth=2
	s_sleep 1
	s_cbranch_execnz .LBB11_214
	s_branch .LBB11_216
	.p2align	6
.LBB11_213:                             ;   in Loop: Header=BB11_145 Depth=1
	s_branch .LBB11_216
.LBB11_214:                             ;   Parent Loop BB11_145 Depth=1
                                        ; =>  This Inner Loop Header: Depth=2
	v_mov_b32_e32 v10, 1
	s_and_saveexec_b32 s1, s0
	s_cbranch_execz .LBB11_211
; %bb.215:                              ;   in Loop: Header=BB11_214 Depth=2
	global_load_b32 v10, v[1:2], off offset:20 glc
	s_waitcnt vmcnt(0)
	buffer_gl1_inv
	buffer_gl0_inv
	v_and_b32_e32 v10, 1, v10
	s_branch .LBB11_211
.LBB11_216:                             ;   in Loop: Header=BB11_145 Depth=1
	global_load_b128 v[8:11], v[8:9], off
	s_and_saveexec_b32 s1, s0
	s_cbranch_execz .LBB11_144
; %bb.217:                              ;   in Loop: Header=BB11_145 Depth=1
	s_clause 0x2
	global_load_b64 v[1:2], v12, s[2:3] offset:40
	global_load_b64 v[10:11], v12, s[2:3] offset:24 glc
	global_load_b64 v[17:18], v12, s[2:3]
	s_waitcnt vmcnt(2)
	v_add_co_u32 v19, vcc_lo, v1, 1
	v_add_co_ci_u32_e32 v20, vcc_lo, 0, v2, vcc_lo
	s_delay_alu instid0(VALU_DEP_2) | instskip(NEXT) | instid1(VALU_DEP_2)
	v_add_co_u32 v15, vcc_lo, v19, s12
	v_add_co_ci_u32_e32 v16, vcc_lo, s13, v20, vcc_lo
	s_delay_alu instid0(VALU_DEP_1) | instskip(SKIP_1) | instid1(VALU_DEP_1)
	v_cmp_eq_u64_e32 vcc_lo, 0, v[15:16]
	v_dual_cndmask_b32 v16, v16, v20 :: v_dual_cndmask_b32 v15, v15, v19
	v_and_b32_e32 v2, v16, v2
	s_delay_alu instid0(VALU_DEP_2) | instskip(NEXT) | instid1(VALU_DEP_1)
	v_and_b32_e32 v1, v15, v1
	v_mul_hi_u32 v19, v1, 24
	v_mul_lo_u32 v1, v1, 24
	s_waitcnt vmcnt(0)
	s_delay_alu instid0(VALU_DEP_1) | instskip(SKIP_2) | instid1(VALU_DEP_1)
	v_add_co_u32 v1, vcc_lo, v17, v1
	v_mov_b32_e32 v17, v10
	v_mul_lo_u32 v2, v2, 24
	v_add_nc_u32_e32 v2, v19, v2
	s_delay_alu instid0(VALU_DEP_1)
	v_add_co_ci_u32_e32 v2, vcc_lo, v18, v2, vcc_lo
	v_mov_b32_e32 v18, v11
	global_store_b64 v[1:2], v[10:11], off
	s_waitcnt_vscnt null, 0x0
	global_atomic_cmpswap_b64 v[17:18], v12, v[15:18], s[2:3] offset:24 glc
	s_waitcnt vmcnt(0)
	v_cmp_ne_u64_e32 vcc_lo, v[17:18], v[10:11]
	s_and_b32 exec_lo, exec_lo, vcc_lo
	s_cbranch_execz .LBB11_144
; %bb.218:                              ;   in Loop: Header=BB11_145 Depth=1
	s_mov_b32 s0, 0
.LBB11_219:                             ;   Parent Loop BB11_145 Depth=1
                                        ; =>  This Inner Loop Header: Depth=2
	s_sleep 1
	global_store_b64 v[1:2], v[17:18], off
	s_waitcnt_vscnt null, 0x0
	global_atomic_cmpswap_b64 v[10:11], v12, v[15:18], s[2:3] offset:24 glc
	s_waitcnt vmcnt(0)
	v_cmp_eq_u64_e32 vcc_lo, v[10:11], v[17:18]
	v_dual_mov_b32 v18, v11 :: v_dual_mov_b32 v17, v10
	s_or_b32 s0, vcc_lo, s0
	s_delay_alu instid0(SALU_CYCLE_1)
	s_and_not1_b32 exec_lo, exec_lo, s0
	s_cbranch_execnz .LBB11_219
	s_branch .LBB11_144
.LBB11_220:
                                        ; implicit-def: $vgpr8_vgpr9
	s_cbranch_execnz .LBB11_222
	s_branch .LBB11_249
.LBB11_221:
	s_branch .LBB11_249
.LBB11_222:
	v_readfirstlane_b32 s0, v37
	v_mov_b32_e32 v1, 0
	v_mov_b32_e32 v2, 0
	s_delay_alu instid0(VALU_DEP_3) | instskip(NEXT) | instid1(VALU_DEP_1)
	v_cmp_eq_u32_e64 s0, s0, v37
	s_and_saveexec_b32 s1, s0
	s_cbranch_execz .LBB11_228
; %bb.223:
	v_mov_b32_e32 v3, 0
	s_mov_b32 s4, exec_lo
	global_load_b64 v[10:11], v3, s[2:3] offset:24 glc
	s_waitcnt vmcnt(0)
	buffer_gl1_inv
	buffer_gl0_inv
	s_clause 0x1
	global_load_b64 v[1:2], v3, s[2:3] offset:40
	global_load_b64 v[8:9], v3, s[2:3]
	s_waitcnt vmcnt(1)
	v_and_b32_e32 v2, v2, v11
	v_and_b32_e32 v1, v1, v10
	s_delay_alu instid0(VALU_DEP_2) | instskip(NEXT) | instid1(VALU_DEP_2)
	v_mul_lo_u32 v2, v2, 24
	v_mul_hi_u32 v12, v1, 24
	v_mul_lo_u32 v1, v1, 24
	s_delay_alu instid0(VALU_DEP_2) | instskip(SKIP_1) | instid1(VALU_DEP_2)
	v_add_nc_u32_e32 v2, v12, v2
	s_waitcnt vmcnt(0)
	v_add_co_u32 v1, vcc_lo, v8, v1
	s_delay_alu instid0(VALU_DEP_2)
	v_add_co_ci_u32_e32 v2, vcc_lo, v9, v2, vcc_lo
	global_load_b64 v[8:9], v[1:2], off glc
	s_waitcnt vmcnt(0)
	global_atomic_cmpswap_b64 v[1:2], v3, v[8:11], s[2:3] offset:24 glc
	s_waitcnt vmcnt(0)
	buffer_gl1_inv
	buffer_gl0_inv
	v_cmpx_ne_u64_e64 v[1:2], v[10:11]
	s_cbranch_execz .LBB11_227
; %bb.224:
	s_mov_b32 s5, 0
	.p2align	6
.LBB11_225:                             ; =>This Inner Loop Header: Depth=1
	s_sleep 1
	s_clause 0x1
	global_load_b64 v[8:9], v3, s[2:3] offset:40
	global_load_b64 v[12:13], v3, s[2:3]
	v_dual_mov_b32 v11, v2 :: v_dual_mov_b32 v10, v1
	s_waitcnt vmcnt(1)
	s_delay_alu instid0(VALU_DEP_1) | instskip(SKIP_1) | instid1(VALU_DEP_1)
	v_and_b32_e32 v8, v8, v10
	s_waitcnt vmcnt(0)
	v_mad_u64_u32 v[1:2], null, v8, 24, v[12:13]
	v_and_b32_e32 v12, v9, v11
	s_delay_alu instid0(VALU_DEP_1) | instskip(NEXT) | instid1(VALU_DEP_1)
	v_mad_u64_u32 v[8:9], null, v12, 24, v[2:3]
	v_mov_b32_e32 v2, v8
	global_load_b64 v[8:9], v[1:2], off glc
	s_waitcnt vmcnt(0)
	global_atomic_cmpswap_b64 v[1:2], v3, v[8:11], s[2:3] offset:24 glc
	s_waitcnt vmcnt(0)
	buffer_gl1_inv
	buffer_gl0_inv
	v_cmp_eq_u64_e32 vcc_lo, v[1:2], v[10:11]
	s_or_b32 s5, vcc_lo, s5
	s_delay_alu instid0(SALU_CYCLE_1)
	s_and_not1_b32 exec_lo, exec_lo, s5
	s_cbranch_execnz .LBB11_225
; %bb.226:
	s_or_b32 exec_lo, exec_lo, s5
.LBB11_227:
	s_delay_alu instid0(SALU_CYCLE_1)
	s_or_b32 exec_lo, exec_lo, s4
.LBB11_228:
	s_delay_alu instid0(SALU_CYCLE_1)
	s_or_b32 exec_lo, exec_lo, s1
	s_waitcnt vmcnt(0)
	v_mov_b32_e32 v8, 0
	v_readfirstlane_b32 s4, v1
	v_readfirstlane_b32 s5, v2
	s_mov_b32 s1, exec_lo
	s_clause 0x1
	global_load_b64 v[14:15], v8, s[2:3] offset:40
	global_load_b128 v[10:13], v8, s[2:3]
	s_waitcnt vmcnt(1)
	v_readfirstlane_b32 s6, v14
	v_readfirstlane_b32 s7, v15
	s_delay_alu instid0(VALU_DEP_1) | instskip(NEXT) | instid1(SALU_CYCLE_1)
	s_and_b64 s[6:7], s[4:5], s[6:7]
	s_mul_i32 s10, s7, 24
	s_mul_hi_u32 s11, s6, 24
	s_mul_i32 s12, s6, 24
	s_add_i32 s11, s11, s10
	s_waitcnt vmcnt(0)
	v_add_co_u32 v1, vcc_lo, v10, s12
	v_add_co_ci_u32_e32 v2, vcc_lo, s11, v11, vcc_lo
	s_and_saveexec_b32 s10, s0
	s_cbranch_execz .LBB11_230
; %bb.229:
	v_dual_mov_b32 v14, s1 :: v_dual_mov_b32 v15, v8
	v_dual_mov_b32 v16, 2 :: v_dual_mov_b32 v17, 1
	global_store_b128 v[1:2], v[14:17], off offset:8
.LBB11_230:
	s_or_b32 exec_lo, exec_lo, s10
	s_lshl_b64 s[6:7], s[6:7], 12
	s_mov_b32 s12, 0
	v_add_co_u32 v3, vcc_lo, v12, s6
	v_add_co_ci_u32_e32 v13, vcc_lo, s7, v13, vcc_lo
	s_mov_b32 s15, s12
	s_delay_alu instid0(VALU_DEP_2)
	v_add_co_u32 v12, vcc_lo, v3, v36
	s_mov_b32 s13, s12
	s_mov_b32 s14, s12
	v_and_or_b32 v6, 0xffffff1f, v6, 32
	v_mov_b32_e32 v9, v8
	v_readfirstlane_b32 s6, v3
	v_readfirstlane_b32 s7, v13
	v_dual_mov_b32 v17, s15 :: v_dual_mov_b32 v14, s12
	v_add_co_ci_u32_e32 v13, vcc_lo, 0, v13, vcc_lo
	v_dual_mov_b32 v16, s14 :: v_dual_mov_b32 v15, s13
	s_clause 0x3
	global_store_b128 v36, v[6:9], s[6:7]
	global_store_b128 v36, v[14:17], s[6:7] offset:16
	global_store_b128 v36, v[14:17], s[6:7] offset:32
	;; [unrolled: 1-line block ×3, first 2 shown]
	s_and_saveexec_b32 s1, s0
	s_cbranch_execz .LBB11_238
; %bb.231:
	v_dual_mov_b32 v3, 0 :: v_dual_mov_b32 v14, s4
	v_mov_b32_e32 v15, s5
	s_clause 0x1
	global_load_b64 v[16:17], v3, s[2:3] offset:32 glc
	global_load_b64 v[6:7], v3, s[2:3] offset:40
	s_waitcnt vmcnt(0)
	v_readfirstlane_b32 s6, v6
	v_readfirstlane_b32 s7, v7
	s_delay_alu instid0(VALU_DEP_1) | instskip(NEXT) | instid1(SALU_CYCLE_1)
	s_and_b64 s[6:7], s[6:7], s[4:5]
	s_mul_i32 s7, s7, 24
	s_mul_hi_u32 s10, s6, 24
	s_mul_i32 s6, s6, 24
	s_add_i32 s10, s10, s7
	v_add_co_u32 v10, vcc_lo, v10, s6
	v_add_co_ci_u32_e32 v11, vcc_lo, s10, v11, vcc_lo
	s_mov_b32 s6, exec_lo
	global_store_b64 v[10:11], v[16:17], off
	s_waitcnt_vscnt null, 0x0
	global_atomic_cmpswap_b64 v[8:9], v3, v[14:17], s[2:3] offset:32 glc
	s_waitcnt vmcnt(0)
	v_cmpx_ne_u64_e64 v[8:9], v[16:17]
	s_cbranch_execz .LBB11_234
; %bb.232:
	s_mov_b32 s7, 0
.LBB11_233:                             ; =>This Inner Loop Header: Depth=1
	v_dual_mov_b32 v6, s4 :: v_dual_mov_b32 v7, s5
	s_sleep 1
	global_store_b64 v[10:11], v[8:9], off
	s_waitcnt_vscnt null, 0x0
	global_atomic_cmpswap_b64 v[6:7], v3, v[6:9], s[2:3] offset:32 glc
	s_waitcnt vmcnt(0)
	v_cmp_eq_u64_e32 vcc_lo, v[6:7], v[8:9]
	v_dual_mov_b32 v9, v7 :: v_dual_mov_b32 v8, v6
	s_or_b32 s7, vcc_lo, s7
	s_delay_alu instid0(SALU_CYCLE_1)
	s_and_not1_b32 exec_lo, exec_lo, s7
	s_cbranch_execnz .LBB11_233
.LBB11_234:
	s_or_b32 exec_lo, exec_lo, s6
	v_mov_b32_e32 v9, 0
	s_mov_b32 s7, exec_lo
	s_mov_b32 s6, exec_lo
	v_mbcnt_lo_u32_b32 v3, s7, 0
	global_load_b64 v[6:7], v9, s[2:3] offset:16
	v_cmpx_eq_u32_e32 0, v3
	s_cbranch_execz .LBB11_236
; %bb.235:
	s_bcnt1_i32_b32 s7, s7
	s_delay_alu instid0(SALU_CYCLE_1)
	v_mov_b32_e32 v8, s7
	s_waitcnt vmcnt(0)
	global_atomic_add_u64 v[6:7], v[8:9], off offset:8
.LBB11_236:
	s_or_b32 exec_lo, exec_lo, s6
	s_waitcnt vmcnt(0)
	global_load_b64 v[8:9], v[6:7], off offset:16
	s_waitcnt vmcnt(0)
	v_cmp_eq_u64_e32 vcc_lo, 0, v[8:9]
	s_cbranch_vccnz .LBB11_238
; %bb.237:
	global_load_b32 v6, v[6:7], off offset:24
	v_mov_b32_e32 v7, 0
	s_waitcnt vmcnt(0)
	v_and_b32_e32 v3, 0xffffff, v6
	s_waitcnt_vscnt null, 0x0
	global_store_b64 v[8:9], v[6:7], off
	v_readfirstlane_b32 m0, v3
	s_sendmsg sendmsg(MSG_INTERRUPT)
.LBB11_238:
	s_or_b32 exec_lo, exec_lo, s1
	s_branch .LBB11_242
	.p2align	6
.LBB11_239:                             ;   in Loop: Header=BB11_242 Depth=1
	s_or_b32 exec_lo, exec_lo, s1
	s_delay_alu instid0(VALU_DEP_1) | instskip(NEXT) | instid1(VALU_DEP_1)
	v_readfirstlane_b32 s1, v3
	s_cmp_eq_u32 s1, 0
	s_cbranch_scc1 .LBB11_241
; %bb.240:                              ;   in Loop: Header=BB11_242 Depth=1
	s_sleep 1
	s_cbranch_execnz .LBB11_242
	s_branch .LBB11_244
	.p2align	6
.LBB11_241:
	s_branch .LBB11_244
.LBB11_242:                             ; =>This Inner Loop Header: Depth=1
	v_mov_b32_e32 v3, 1
	s_and_saveexec_b32 s1, s0
	s_cbranch_execz .LBB11_239
; %bb.243:                              ;   in Loop: Header=BB11_242 Depth=1
	global_load_b32 v3, v[1:2], off offset:20 glc
	s_waitcnt vmcnt(0)
	buffer_gl1_inv
	buffer_gl0_inv
	v_and_b32_e32 v3, 1, v3
	s_branch .LBB11_239
.LBB11_244:
	global_load_b64 v[8:9], v[12:13], off
	s_and_saveexec_b32 s1, s0
	s_cbranch_execz .LBB11_248
; %bb.245:
	v_mov_b32_e32 v3, 0
	s_clause 0x2
	global_load_b64 v[1:2], v3, s[2:3] offset:40
	global_load_b64 v[6:7], v3, s[2:3] offset:24 glc
	global_load_b64 v[12:13], v3, s[2:3]
	s_waitcnt vmcnt(2)
	v_add_co_u32 v14, vcc_lo, v1, 1
	v_add_co_ci_u32_e32 v15, vcc_lo, 0, v2, vcc_lo
	s_delay_alu instid0(VALU_DEP_2) | instskip(NEXT) | instid1(VALU_DEP_2)
	v_add_co_u32 v10, vcc_lo, v14, s4
	v_add_co_ci_u32_e32 v11, vcc_lo, s5, v15, vcc_lo
	s_delay_alu instid0(VALU_DEP_1) | instskip(SKIP_1) | instid1(VALU_DEP_1)
	v_cmp_eq_u64_e32 vcc_lo, 0, v[10:11]
	v_cndmask_b32_e32 v10, v10, v14, vcc_lo
	v_and_b32_e32 v1, v10, v1
	s_delay_alu instid0(VALU_DEP_1) | instskip(SKIP_2) | instid1(VALU_DEP_2)
	v_mul_hi_u32 v14, v1, 24
	v_cndmask_b32_e32 v11, v11, v15, vcc_lo
	v_mul_lo_u32 v1, v1, 24
	v_and_b32_e32 v2, v11, v2
	s_waitcnt vmcnt(0)
	s_delay_alu instid0(VALU_DEP_2) | instskip(NEXT) | instid1(VALU_DEP_2)
	v_add_co_u32 v1, vcc_lo, v12, v1
	v_mul_lo_u32 v2, v2, 24
	v_mov_b32_e32 v12, v6
	s_delay_alu instid0(VALU_DEP_2) | instskip(NEXT) | instid1(VALU_DEP_1)
	v_add_nc_u32_e32 v2, v14, v2
	v_add_co_ci_u32_e32 v2, vcc_lo, v13, v2, vcc_lo
	v_mov_b32_e32 v13, v7
	global_store_b64 v[1:2], v[6:7], off
	s_waitcnt_vscnt null, 0x0
	global_atomic_cmpswap_b64 v[12:13], v3, v[10:13], s[2:3] offset:24 glc
	s_waitcnt vmcnt(0)
	v_cmp_ne_u64_e32 vcc_lo, v[12:13], v[6:7]
	s_and_b32 exec_lo, exec_lo, vcc_lo
	s_cbranch_execz .LBB11_248
; %bb.246:
	s_mov_b32 s0, 0
.LBB11_247:                             ; =>This Inner Loop Header: Depth=1
	s_sleep 1
	global_store_b64 v[1:2], v[12:13], off
	s_waitcnt_vscnt null, 0x0
	global_atomic_cmpswap_b64 v[6:7], v3, v[10:13], s[2:3] offset:24 glc
	s_waitcnt vmcnt(0)
	v_cmp_eq_u64_e32 vcc_lo, v[6:7], v[12:13]
	v_dual_mov_b32 v13, v7 :: v_dual_mov_b32 v12, v6
	s_or_b32 s0, vcc_lo, s0
	s_delay_alu instid0(SALU_CYCLE_1)
	s_and_not1_b32 exec_lo, exec_lo, s0
	s_cbranch_execnz .LBB11_247
.LBB11_248:
	s_or_b32 exec_lo, exec_lo, s1
.LBB11_249:
	v_readfirstlane_b32 s0, v37
	v_mov_b32_e32 v1, 0
	v_mov_b32_e32 v2, 0
	s_delay_alu instid0(VALU_DEP_3) | instskip(NEXT) | instid1(VALU_DEP_1)
	v_cmp_eq_u32_e64 s0, s0, v37
	s_and_saveexec_b32 s1, s0
	s_cbranch_execz .LBB11_255
; %bb.250:
	v_mov_b32_e32 v3, 0
	s_mov_b32 s4, exec_lo
	global_load_b64 v[12:13], v3, s[2:3] offset:24 glc
	s_waitcnt vmcnt(0)
	buffer_gl1_inv
	buffer_gl0_inv
	s_clause 0x1
	global_load_b64 v[1:2], v3, s[2:3] offset:40
	global_load_b64 v[6:7], v3, s[2:3]
	s_waitcnt vmcnt(1)
	v_and_b32_e32 v2, v2, v13
	v_and_b32_e32 v1, v1, v12
	s_delay_alu instid0(VALU_DEP_2) | instskip(NEXT) | instid1(VALU_DEP_2)
	v_mul_lo_u32 v2, v2, 24
	v_mul_hi_u32 v10, v1, 24
	v_mul_lo_u32 v1, v1, 24
	s_delay_alu instid0(VALU_DEP_2) | instskip(SKIP_1) | instid1(VALU_DEP_2)
	v_add_nc_u32_e32 v2, v10, v2
	s_waitcnt vmcnt(0)
	v_add_co_u32 v1, vcc_lo, v6, v1
	s_delay_alu instid0(VALU_DEP_2)
	v_add_co_ci_u32_e32 v2, vcc_lo, v7, v2, vcc_lo
	global_load_b64 v[10:11], v[1:2], off glc
	s_waitcnt vmcnt(0)
	global_atomic_cmpswap_b64 v[1:2], v3, v[10:13], s[2:3] offset:24 glc
	s_waitcnt vmcnt(0)
	buffer_gl1_inv
	buffer_gl0_inv
	v_cmpx_ne_u64_e64 v[1:2], v[12:13]
	s_cbranch_execz .LBB11_254
; %bb.251:
	s_mov_b32 s5, 0
	.p2align	6
.LBB11_252:                             ; =>This Inner Loop Header: Depth=1
	s_sleep 1
	s_clause 0x1
	global_load_b64 v[6:7], v3, s[2:3] offset:40
	global_load_b64 v[10:11], v3, s[2:3]
	v_dual_mov_b32 v13, v2 :: v_dual_mov_b32 v12, v1
	s_waitcnt vmcnt(1)
	s_delay_alu instid0(VALU_DEP_1) | instskip(SKIP_1) | instid1(VALU_DEP_1)
	v_and_b32_e32 v6, v6, v12
	s_waitcnt vmcnt(0)
	v_mad_u64_u32 v[1:2], null, v6, 24, v[10:11]
	v_and_b32_e32 v10, v7, v13
	s_delay_alu instid0(VALU_DEP_1) | instskip(NEXT) | instid1(VALU_DEP_1)
	v_mad_u64_u32 v[6:7], null, v10, 24, v[2:3]
	v_mov_b32_e32 v2, v6
	global_load_b64 v[10:11], v[1:2], off glc
	s_waitcnt vmcnt(0)
	global_atomic_cmpswap_b64 v[1:2], v3, v[10:13], s[2:3] offset:24 glc
	s_waitcnt vmcnt(0)
	buffer_gl1_inv
	buffer_gl0_inv
	v_cmp_eq_u64_e32 vcc_lo, v[1:2], v[12:13]
	s_or_b32 s5, vcc_lo, s5
	s_delay_alu instid0(SALU_CYCLE_1)
	s_and_not1_b32 exec_lo, exec_lo, s5
	s_cbranch_execnz .LBB11_252
; %bb.253:
	s_or_b32 exec_lo, exec_lo, s5
.LBB11_254:
	s_delay_alu instid0(SALU_CYCLE_1)
	s_or_b32 exec_lo, exec_lo, s4
.LBB11_255:
	s_delay_alu instid0(SALU_CYCLE_1)
	s_or_b32 exec_lo, exec_lo, s1
	s_waitcnt vmcnt(0)
	v_mov_b32_e32 v11, 0
	v_readfirstlane_b32 s4, v1
	v_readfirstlane_b32 s5, v2
	s_mov_b32 s1, exec_lo
	s_clause 0x1
	global_load_b64 v[6:7], v11, s[2:3] offset:40
	global_load_b128 v[12:15], v11, s[2:3]
	s_waitcnt vmcnt(1)
	v_readfirstlane_b32 s6, v6
	v_readfirstlane_b32 s7, v7
	s_delay_alu instid0(VALU_DEP_1) | instskip(NEXT) | instid1(SALU_CYCLE_1)
	s_and_b64 s[6:7], s[4:5], s[6:7]
	s_mul_i32 s10, s7, 24
	s_mul_hi_u32 s11, s6, 24
	s_mul_i32 s12, s6, 24
	s_add_i32 s11, s11, s10
	s_waitcnt vmcnt(0)
	v_add_co_u32 v6, vcc_lo, v12, s12
	v_add_co_ci_u32_e32 v7, vcc_lo, s11, v13, vcc_lo
	s_and_saveexec_b32 s10, s0
	s_cbranch_execz .LBB11_257
; %bb.256:
	v_dual_mov_b32 v10, s1 :: v_dual_mov_b32 v19, 1
	v_dual_mov_b32 v18, 2 :: v_dual_mov_b32 v17, v11
	s_delay_alu instid0(VALU_DEP_2)
	v_mov_b32_e32 v16, v10
	global_store_b128 v[6:7], v[16:19], off offset:8
.LBB11_257:
	s_or_b32 exec_lo, exec_lo, s10
	s_lshl_b64 s[6:7], s[6:7], 12
	s_mov_b32 s12, 0
	v_add_co_u32 v14, vcc_lo, v14, s6
	v_add_co_ci_u32_e32 v15, vcc_lo, s7, v15, vcc_lo
	s_mov_b32 s13, s12
	s_delay_alu instid0(VALU_DEP_2)
	v_readfirstlane_b32 s6, v14
	v_add_co_u32 v14, vcc_lo, v14, v36
	s_mov_b32 s14, s12
	s_mov_b32 s15, s12
	v_and_or_b32 v8, 0xffffff1f, v8, 32
	v_mov_b32_e32 v10, v0
	v_readfirstlane_b32 s7, v15
	v_dual_mov_b32 v0, s12 :: v_dual_mov_b32 v3, s15
	v_add_co_ci_u32_e32 v15, vcc_lo, 0, v15, vcc_lo
	v_dual_mov_b32 v1, s13 :: v_dual_mov_b32 v2, s14
	s_clause 0x3
	global_store_b128 v36, v[8:11], s[6:7]
	global_store_b128 v36, v[0:3], s[6:7] offset:16
	global_store_b128 v36, v[0:3], s[6:7] offset:32
	;; [unrolled: 1-line block ×3, first 2 shown]
	s_and_saveexec_b32 s1, s0
	s_cbranch_execz .LBB11_265
; %bb.258:
	v_dual_mov_b32 v10, 0 :: v_dual_mov_b32 v17, s5
	v_mov_b32_e32 v16, s4
	s_clause 0x1
	global_load_b64 v[18:19], v10, s[2:3] offset:32 glc
	global_load_b64 v[0:1], v10, s[2:3] offset:40
	s_waitcnt vmcnt(0)
	v_readfirstlane_b32 s6, v0
	v_readfirstlane_b32 s7, v1
	s_delay_alu instid0(VALU_DEP_1) | instskip(NEXT) | instid1(SALU_CYCLE_1)
	s_and_b64 s[6:7], s[6:7], s[4:5]
	s_mul_i32 s7, s7, 24
	s_mul_hi_u32 s10, s6, 24
	s_mul_i32 s6, s6, 24
	s_add_i32 s10, s10, s7
	v_add_co_u32 v8, vcc_lo, v12, s6
	v_add_co_ci_u32_e32 v9, vcc_lo, s10, v13, vcc_lo
	s_mov_b32 s6, exec_lo
	global_store_b64 v[8:9], v[18:19], off
	s_waitcnt_vscnt null, 0x0
	global_atomic_cmpswap_b64 v[2:3], v10, v[16:19], s[2:3] offset:32 glc
	s_waitcnt vmcnt(0)
	v_cmpx_ne_u64_e64 v[2:3], v[18:19]
	s_cbranch_execz .LBB11_261
; %bb.259:
	s_mov_b32 s7, 0
.LBB11_260:                             ; =>This Inner Loop Header: Depth=1
	v_dual_mov_b32 v0, s4 :: v_dual_mov_b32 v1, s5
	s_sleep 1
	global_store_b64 v[8:9], v[2:3], off
	s_waitcnt_vscnt null, 0x0
	global_atomic_cmpswap_b64 v[0:1], v10, v[0:3], s[2:3] offset:32 glc
	s_waitcnt vmcnt(0)
	v_cmp_eq_u64_e32 vcc_lo, v[0:1], v[2:3]
	v_dual_mov_b32 v3, v1 :: v_dual_mov_b32 v2, v0
	s_or_b32 s7, vcc_lo, s7
	s_delay_alu instid0(SALU_CYCLE_1)
	s_and_not1_b32 exec_lo, exec_lo, s7
	s_cbranch_execnz .LBB11_260
.LBB11_261:
	s_or_b32 exec_lo, exec_lo, s6
	v_mov_b32_e32 v3, 0
	s_mov_b32 s7, exec_lo
	s_mov_b32 s6, exec_lo
	v_mbcnt_lo_u32_b32 v2, s7, 0
	global_load_b64 v[0:1], v3, s[2:3] offset:16
	v_cmpx_eq_u32_e32 0, v2
	s_cbranch_execz .LBB11_263
; %bb.262:
	s_bcnt1_i32_b32 s7, s7
	s_delay_alu instid0(SALU_CYCLE_1)
	v_mov_b32_e32 v2, s7
	s_waitcnt vmcnt(0)
	global_atomic_add_u64 v[0:1], v[2:3], off offset:8
.LBB11_263:
	s_or_b32 exec_lo, exec_lo, s6
	s_waitcnt vmcnt(0)
	global_load_b64 v[2:3], v[0:1], off offset:16
	s_waitcnt vmcnt(0)
	v_cmp_eq_u64_e32 vcc_lo, 0, v[2:3]
	s_cbranch_vccnz .LBB11_265
; %bb.264:
	global_load_b32 v0, v[0:1], off offset:24
	s_waitcnt vmcnt(0)
	v_dual_mov_b32 v1, 0 :: v_dual_and_b32 v8, 0xffffff, v0
	s_waitcnt_vscnt null, 0x0
	global_store_b64 v[2:3], v[0:1], off
	v_readfirstlane_b32 m0, v8
	s_sendmsg sendmsg(MSG_INTERRUPT)
.LBB11_265:
	s_or_b32 exec_lo, exec_lo, s1
	s_branch .LBB11_269
	.p2align	6
.LBB11_266:                             ;   in Loop: Header=BB11_269 Depth=1
	s_or_b32 exec_lo, exec_lo, s1
	s_delay_alu instid0(VALU_DEP_1) | instskip(NEXT) | instid1(VALU_DEP_1)
	v_readfirstlane_b32 s1, v0
	s_cmp_eq_u32 s1, 0
	s_cbranch_scc1 .LBB11_268
; %bb.267:                              ;   in Loop: Header=BB11_269 Depth=1
	s_sleep 1
	s_cbranch_execnz .LBB11_269
	s_branch .LBB11_271
	.p2align	6
.LBB11_268:
	s_branch .LBB11_271
.LBB11_269:                             ; =>This Inner Loop Header: Depth=1
	v_mov_b32_e32 v0, 1
	s_and_saveexec_b32 s1, s0
	s_cbranch_execz .LBB11_266
; %bb.270:                              ;   in Loop: Header=BB11_269 Depth=1
	global_load_b32 v0, v[6:7], off offset:20 glc
	s_waitcnt vmcnt(0)
	buffer_gl1_inv
	buffer_gl0_inv
	v_and_b32_e32 v0, 1, v0
	s_branch .LBB11_266
.LBB11_271:
	global_load_b64 v[0:1], v[14:15], off
	s_and_saveexec_b32 s1, s0
	s_cbranch_execz .LBB11_275
; %bb.272:
	v_mov_b32_e32 v10, 0
	s_clause 0x2
	global_load_b64 v[2:3], v10, s[2:3] offset:40
	global_load_b64 v[11:12], v10, s[2:3] offset:24 glc
	global_load_b64 v[8:9], v10, s[2:3]
	s_waitcnt vmcnt(2)
	v_add_co_u32 v13, vcc_lo, v2, 1
	v_add_co_ci_u32_e32 v14, vcc_lo, 0, v3, vcc_lo
	s_delay_alu instid0(VALU_DEP_2) | instskip(NEXT) | instid1(VALU_DEP_2)
	v_add_co_u32 v6, vcc_lo, v13, s4
	v_add_co_ci_u32_e32 v7, vcc_lo, s5, v14, vcc_lo
	s_delay_alu instid0(VALU_DEP_1) | instskip(SKIP_1) | instid1(VALU_DEP_1)
	v_cmp_eq_u64_e32 vcc_lo, 0, v[6:7]
	v_dual_cndmask_b32 v7, v7, v14 :: v_dual_cndmask_b32 v6, v6, v13
	v_and_b32_e32 v3, v7, v3
	s_delay_alu instid0(VALU_DEP_2) | instskip(NEXT) | instid1(VALU_DEP_2)
	v_and_b32_e32 v2, v6, v2
	v_mul_lo_u32 v3, v3, 24
	s_delay_alu instid0(VALU_DEP_2) | instskip(SKIP_1) | instid1(VALU_DEP_2)
	v_mul_hi_u32 v13, v2, 24
	v_mul_lo_u32 v2, v2, 24
	v_add_nc_u32_e32 v3, v13, v3
	s_waitcnt vmcnt(0)
	s_delay_alu instid0(VALU_DEP_2) | instskip(SKIP_1) | instid1(VALU_DEP_3)
	v_add_co_u32 v2, vcc_lo, v8, v2
	v_mov_b32_e32 v8, v11
	v_add_co_ci_u32_e32 v3, vcc_lo, v9, v3, vcc_lo
	v_mov_b32_e32 v9, v12
	global_store_b64 v[2:3], v[11:12], off
	s_waitcnt_vscnt null, 0x0
	global_atomic_cmpswap_b64 v[8:9], v10, v[6:9], s[2:3] offset:24 glc
	s_waitcnt vmcnt(0)
	v_cmp_ne_u64_e32 vcc_lo, v[8:9], v[11:12]
	s_and_b32 exec_lo, exec_lo, vcc_lo
	s_cbranch_execz .LBB11_275
; %bb.273:
	s_mov_b32 s0, 0
.LBB11_274:                             ; =>This Inner Loop Header: Depth=1
	s_sleep 1
	global_store_b64 v[2:3], v[8:9], off
	s_waitcnt_vscnt null, 0x0
	global_atomic_cmpswap_b64 v[11:12], v10, v[6:9], s[2:3] offset:24 glc
	s_waitcnt vmcnt(0)
	v_cmp_eq_u64_e32 vcc_lo, v[11:12], v[8:9]
	v_dual_mov_b32 v8, v11 :: v_dual_mov_b32 v9, v12
	s_or_b32 s0, vcc_lo, s0
	s_delay_alu instid0(SALU_CYCLE_1)
	s_and_not1_b32 exec_lo, exec_lo, s0
	s_cbranch_execnz .LBB11_274
.LBB11_275:
	s_or_b32 exec_lo, exec_lo, s1
	v_dual_mov_b32 v7, v5 :: v_dual_mov_b32 v6, v4
	s_mov_b32 s0, 0
.LBB11_276:                             ; =>This Inner Loop Header: Depth=1
	flat_load_u8 v8, v[6:7]
	v_add_co_u32 v2, vcc_lo, v6, 1
	v_add_co_ci_u32_e32 v3, vcc_lo, 0, v7, vcc_lo
	s_delay_alu instid0(VALU_DEP_1) | instskip(SKIP_3) | instid1(SALU_CYCLE_1)
	v_dual_mov_b32 v7, v3 :: v_dual_mov_b32 v6, v2
	s_waitcnt vmcnt(0) lgkmcnt(0)
	v_cmp_eq_u16_e32 vcc_lo, 0, v8
	s_or_b32 s0, vcc_lo, s0
	s_and_not1_b32 exec_lo, exec_lo, s0
	s_cbranch_execnz .LBB11_276
; %bb.277:
	s_or_b32 exec_lo, exec_lo, s0
	s_delay_alu instid0(SALU_CYCLE_1)
	s_mov_b32 s0, exec_lo
	v_cmpx_ne_u64_e32 0, v[4:5]
	s_xor_b32 s10, exec_lo, s0
	s_cbranch_execz .LBB11_363
; %bb.278:
	v_sub_nc_u32_e32 v26, v2, v4
	v_dual_mov_b32 v7, 0 :: v_dual_and_b32 v32, 2, v0
	v_dual_mov_b32 v9, 1 :: v_dual_and_b32 v0, -3, v0
	v_mov_b32_e32 v8, 2
	s_delay_alu instid0(VALU_DEP_4)
	v_ashrrev_i32_e32 v27, 31, v26
	s_mov_b32 s12, 0
	s_mov_b32 s11, 0
	s_branch .LBB11_280
.LBB11_279:                             ;   in Loop: Header=BB11_280 Depth=1
	s_or_b32 exec_lo, exec_lo, s1
	v_sub_co_u32 v26, vcc_lo, v26, v28
	v_sub_co_ci_u32_e32 v27, vcc_lo, v27, v29, vcc_lo
	v_add_co_u32 v4, s0, v4, v28
	s_delay_alu instid0(VALU_DEP_1) | instskip(NEXT) | instid1(VALU_DEP_3)
	v_add_co_ci_u32_e64 v5, s0, v5, v29, s0
	v_cmp_eq_u64_e32 vcc_lo, 0, v[26:27]
	s_or_b32 s11, vcc_lo, s11
	s_delay_alu instid0(SALU_CYCLE_1)
	s_and_not1_b32 exec_lo, exec_lo, s11
	s_cbranch_execz .LBB11_362
.LBB11_280:                             ; =>This Loop Header: Depth=1
                                        ;     Child Loop BB11_283 Depth 2
                                        ;     Child Loop BB11_291 Depth 2
	;; [unrolled: 1-line block ×11, first 2 shown]
	s_delay_alu instid0(VALU_DEP_1)
	v_cmp_gt_u64_e32 vcc_lo, 56, v[26:27]
	s_mov_b32 s1, exec_lo
                                        ; implicit-def: $vgpr2_vgpr3
                                        ; implicit-def: $sgpr4
	v_dual_cndmask_b32 v29, 0, v27 :: v_dual_cndmask_b32 v28, 56, v26
	v_cmpx_gt_u64_e32 8, v[26:27]
	s_xor_b32 s1, exec_lo, s1
	s_cbranch_execz .LBB11_286
; %bb.281:                              ;   in Loop: Header=BB11_280 Depth=1
	s_waitcnt vmcnt(0)
	v_mov_b32_e32 v2, 0
	v_mov_b32_e32 v3, 0
	s_mov_b64 s[4:5], 0
	s_mov_b32 s6, exec_lo
	v_cmpx_ne_u64_e32 0, v[26:27]
	s_cbranch_execz .LBB11_285
; %bb.282:                              ;   in Loop: Header=BB11_280 Depth=1
	v_lshlrev_b64 v[10:11], 3, v[28:29]
	v_mov_b32_e32 v2, 0
	v_dual_mov_b32 v3, 0 :: v_dual_mov_b32 v12, v5
	v_mov_b32_e32 v11, v4
	s_mov_b32 s7, 0
	.p2align	6
.LBB11_283:                             ;   Parent Loop BB11_280 Depth=1
                                        ; =>  This Inner Loop Header: Depth=2
	flat_load_u8 v6, v[11:12]
	v_mov_b32_e32 v14, s12
	v_add_co_u32 v11, vcc_lo, v11, 1
	v_add_co_ci_u32_e32 v12, vcc_lo, 0, v12, vcc_lo
	s_waitcnt vmcnt(0) lgkmcnt(0)
	v_and_b32_e32 v13, 0xffff, v6
	s_delay_alu instid0(VALU_DEP_1) | instskip(SKIP_3) | instid1(VALU_DEP_2)
	v_lshlrev_b64 v[13:14], s4, v[13:14]
	s_add_u32 s4, s4, 8
	s_addc_u32 s5, s5, 0
	v_cmp_eq_u32_e64 s0, s4, v10
	v_or_b32_e32 v3, v14, v3
	s_delay_alu instid0(VALU_DEP_3) | instskip(NEXT) | instid1(VALU_DEP_3)
	v_or_b32_e32 v2, v13, v2
	s_or_b32 s7, s0, s7
	s_delay_alu instid0(SALU_CYCLE_1)
	s_and_not1_b32 exec_lo, exec_lo, s7
	s_cbranch_execnz .LBB11_283
; %bb.284:                              ;   in Loop: Header=BB11_280 Depth=1
	s_or_b32 exec_lo, exec_lo, s7
.LBB11_285:                             ;   in Loop: Header=BB11_280 Depth=1
	s_delay_alu instid0(SALU_CYCLE_1)
	s_or_b32 exec_lo, exec_lo, s6
	s_mov_b32 s4, 0
.LBB11_286:                             ;   in Loop: Header=BB11_280 Depth=1
	s_or_saveexec_b32 s0, s1
	v_dual_mov_b32 v6, s4 :: v_dual_mov_b32 v23, v5
	v_mov_b32_e32 v22, v4
	s_xor_b32 exec_lo, exec_lo, s0
	s_cbranch_execz .LBB11_288
; %bb.287:                              ;   in Loop: Header=BB11_280 Depth=1
	s_waitcnt vmcnt(0)
	flat_load_b64 v[2:3], v[4:5]
	v_add_co_u32 v22, vcc_lo, v4, 8
	v_add_co_ci_u32_e32 v23, vcc_lo, 0, v5, vcc_lo
	s_waitcnt vmcnt(0) lgkmcnt(0)
	v_and_b32_e32 v6, 0xff, v3
	v_and_b32_e32 v10, 0xff00, v3
	;; [unrolled: 1-line block ×4, first 2 shown]
	v_or3_b32 v2, v2, 0, 0
	s_delay_alu instid0(VALU_DEP_4) | instskip(SKIP_1) | instid1(VALU_DEP_2)
	v_or_b32_e32 v10, v6, v10
	v_add_nc_u32_e32 v6, -8, v28
	v_or3_b32 v3, v10, v11, v3
.LBB11_288:                             ;   in Loop: Header=BB11_280 Depth=1
	s_or_b32 exec_lo, exec_lo, s0
                                        ; implicit-def: $vgpr10_vgpr11
                                        ; implicit-def: $sgpr1
	s_delay_alu instid0(SALU_CYCLE_1) | instskip(NEXT) | instid1(VALU_DEP_2)
	s_mov_b32 s0, exec_lo
	v_cmpx_gt_u32_e32 8, v6
	s_xor_b32 s6, exec_lo, s0
	s_cbranch_execz .LBB11_294
; %bb.289:                              ;   in Loop: Header=BB11_280 Depth=1
	v_mov_b32_e32 v10, 0
	v_mov_b32_e32 v11, 0
	s_mov_b32 s7, exec_lo
	v_cmpx_ne_u32_e32 0, v6
	s_cbranch_execz .LBB11_293
; %bb.290:                              ;   in Loop: Header=BB11_280 Depth=1
	v_mov_b32_e32 v10, 0
	v_mov_b32_e32 v11, 0
	s_mov_b64 s[0:1], 0
	s_mov_b32 s13, 0
	s_mov_b64 s[4:5], 0
	.p2align	6
.LBB11_291:                             ;   Parent Loop BB11_280 Depth=1
                                        ; =>  This Inner Loop Header: Depth=2
	s_delay_alu instid0(SALU_CYCLE_1)
	v_add_co_u32 v12, vcc_lo, v22, s4
	v_add_co_ci_u32_e32 v13, vcc_lo, s5, v23, vcc_lo
	s_add_u32 s4, s4, 1
	s_addc_u32 s5, s5, 0
	v_cmp_eq_u32_e32 vcc_lo, s4, v6
	flat_load_u8 v12, v[12:13]
	s_waitcnt vmcnt(0) lgkmcnt(0)
	v_dual_mov_b32 v13, s12 :: v_dual_and_b32 v12, 0xffff, v12
	s_delay_alu instid0(VALU_DEP_1) | instskip(SKIP_3) | instid1(VALU_DEP_1)
	v_lshlrev_b64 v[12:13], s0, v[12:13]
	s_add_u32 s0, s0, 8
	s_addc_u32 s1, s1, 0
	s_or_b32 s13, vcc_lo, s13
	v_or_b32_e32 v11, v13, v11
	s_delay_alu instid0(VALU_DEP_2)
	v_or_b32_e32 v10, v12, v10
	s_and_not1_b32 exec_lo, exec_lo, s13
	s_cbranch_execnz .LBB11_291
; %bb.292:                              ;   in Loop: Header=BB11_280 Depth=1
	s_or_b32 exec_lo, exec_lo, s13
.LBB11_293:                             ;   in Loop: Header=BB11_280 Depth=1
	s_delay_alu instid0(SALU_CYCLE_1)
	s_or_b32 exec_lo, exec_lo, s7
	s_mov_b32 s1, 0
                                        ; implicit-def: $vgpr6
.LBB11_294:                             ;   in Loop: Header=BB11_280 Depth=1
	s_or_saveexec_b32 s0, s6
	v_mov_b32_e32 v14, s1
	s_xor_b32 exec_lo, exec_lo, s0
	s_cbranch_execz .LBB11_296
; %bb.295:                              ;   in Loop: Header=BB11_280 Depth=1
	flat_load_b64 v[10:11], v[22:23]
	v_add_co_u32 v22, vcc_lo, v22, 8
	v_add_nc_u32_e32 v14, -8, v6
	v_add_co_ci_u32_e32 v23, vcc_lo, 0, v23, vcc_lo
	s_waitcnt vmcnt(0) lgkmcnt(0)
	v_and_b32_e32 v12, 0xff, v11
	v_and_b32_e32 v13, 0xff00, v11
	v_and_b32_e32 v15, 0xff0000, v11
	v_and_b32_e32 v11, 0xff000000, v11
	v_or3_b32 v10, v10, 0, 0
	s_delay_alu instid0(VALU_DEP_4) | instskip(NEXT) | instid1(VALU_DEP_1)
	v_or_b32_e32 v12, v12, v13
	v_or3_b32 v11, v12, v15, v11
.LBB11_296:                             ;   in Loop: Header=BB11_280 Depth=1
	s_or_b32 exec_lo, exec_lo, s0
                                        ; implicit-def: $sgpr1
	s_delay_alu instid0(SALU_CYCLE_1)
	s_mov_b32 s0, exec_lo
	v_cmpx_gt_u32_e32 8, v14
	s_xor_b32 s6, exec_lo, s0
	s_cbranch_execz .LBB11_302
; %bb.297:                              ;   in Loop: Header=BB11_280 Depth=1
	v_mov_b32_e32 v12, 0
	v_mov_b32_e32 v13, 0
	s_mov_b32 s7, exec_lo
	v_cmpx_ne_u32_e32 0, v14
	s_cbranch_execz .LBB11_301
; %bb.298:                              ;   in Loop: Header=BB11_280 Depth=1
	v_mov_b32_e32 v12, 0
	v_mov_b32_e32 v13, 0
	s_mov_b64 s[0:1], 0
	s_mov_b32 s13, 0
	s_mov_b64 s[4:5], 0
	.p2align	6
.LBB11_299:                             ;   Parent Loop BB11_280 Depth=1
                                        ; =>  This Inner Loop Header: Depth=2
	s_delay_alu instid0(SALU_CYCLE_1)
	v_add_co_u32 v15, vcc_lo, v22, s4
	v_add_co_ci_u32_e32 v16, vcc_lo, s5, v23, vcc_lo
	s_add_u32 s4, s4, 1
	s_addc_u32 s5, s5, 0
	v_cmp_eq_u32_e32 vcc_lo, s4, v14
	flat_load_u8 v6, v[15:16]
	s_waitcnt vmcnt(0) lgkmcnt(0)
	v_dual_mov_b32 v16, s12 :: v_dual_and_b32 v15, 0xffff, v6
	s_delay_alu instid0(VALU_DEP_1) | instskip(SKIP_3) | instid1(VALU_DEP_1)
	v_lshlrev_b64 v[15:16], s0, v[15:16]
	s_add_u32 s0, s0, 8
	s_addc_u32 s1, s1, 0
	s_or_b32 s13, vcc_lo, s13
	v_or_b32_e32 v13, v16, v13
	s_delay_alu instid0(VALU_DEP_2)
	v_or_b32_e32 v12, v15, v12
	s_and_not1_b32 exec_lo, exec_lo, s13
	s_cbranch_execnz .LBB11_299
; %bb.300:                              ;   in Loop: Header=BB11_280 Depth=1
	s_or_b32 exec_lo, exec_lo, s13
.LBB11_301:                             ;   in Loop: Header=BB11_280 Depth=1
	s_delay_alu instid0(SALU_CYCLE_1)
	s_or_b32 exec_lo, exec_lo, s7
	s_mov_b32 s1, 0
                                        ; implicit-def: $vgpr14
.LBB11_302:                             ;   in Loop: Header=BB11_280 Depth=1
	s_or_saveexec_b32 s0, s6
	v_mov_b32_e32 v6, s1
	s_xor_b32 exec_lo, exec_lo, s0
	s_cbranch_execz .LBB11_304
; %bb.303:                              ;   in Loop: Header=BB11_280 Depth=1
	flat_load_b64 v[12:13], v[22:23]
	v_add_co_u32 v22, vcc_lo, v22, 8
	v_add_co_ci_u32_e32 v23, vcc_lo, 0, v23, vcc_lo
	s_waitcnt vmcnt(0) lgkmcnt(0)
	v_and_b32_e32 v6, 0xff, v13
	v_and_b32_e32 v15, 0xff00, v13
	;; [unrolled: 1-line block ×4, first 2 shown]
	v_or3_b32 v12, v12, 0, 0
	s_delay_alu instid0(VALU_DEP_4) | instskip(SKIP_1) | instid1(VALU_DEP_2)
	v_or_b32_e32 v15, v6, v15
	v_add_nc_u32_e32 v6, -8, v14
	v_or3_b32 v13, v15, v16, v13
.LBB11_304:                             ;   in Loop: Header=BB11_280 Depth=1
	s_or_b32 exec_lo, exec_lo, s0
                                        ; implicit-def: $vgpr14_vgpr15
                                        ; implicit-def: $sgpr1
	s_delay_alu instid0(SALU_CYCLE_1) | instskip(NEXT) | instid1(VALU_DEP_1)
	s_mov_b32 s0, exec_lo
	v_cmpx_gt_u32_e32 8, v6
	s_xor_b32 s6, exec_lo, s0
	s_cbranch_execz .LBB11_310
; %bb.305:                              ;   in Loop: Header=BB11_280 Depth=1
	v_mov_b32_e32 v14, 0
	v_mov_b32_e32 v15, 0
	s_mov_b32 s7, exec_lo
	v_cmpx_ne_u32_e32 0, v6
	s_cbranch_execz .LBB11_309
; %bb.306:                              ;   in Loop: Header=BB11_280 Depth=1
	v_mov_b32_e32 v14, 0
	v_mov_b32_e32 v15, 0
	s_mov_b64 s[0:1], 0
	s_mov_b32 s13, 0
	s_mov_b64 s[4:5], 0
	.p2align	6
.LBB11_307:                             ;   Parent Loop BB11_280 Depth=1
                                        ; =>  This Inner Loop Header: Depth=2
	s_delay_alu instid0(SALU_CYCLE_1)
	v_add_co_u32 v16, vcc_lo, v22, s4
	v_add_co_ci_u32_e32 v17, vcc_lo, s5, v23, vcc_lo
	s_add_u32 s4, s4, 1
	s_addc_u32 s5, s5, 0
	v_cmp_eq_u32_e32 vcc_lo, s4, v6
	flat_load_u8 v16, v[16:17]
	s_waitcnt vmcnt(0) lgkmcnt(0)
	v_dual_mov_b32 v17, s12 :: v_dual_and_b32 v16, 0xffff, v16
	s_delay_alu instid0(VALU_DEP_1) | instskip(SKIP_3) | instid1(VALU_DEP_1)
	v_lshlrev_b64 v[16:17], s0, v[16:17]
	s_add_u32 s0, s0, 8
	s_addc_u32 s1, s1, 0
	s_or_b32 s13, vcc_lo, s13
	v_or_b32_e32 v15, v17, v15
	s_delay_alu instid0(VALU_DEP_2)
	v_or_b32_e32 v14, v16, v14
	s_and_not1_b32 exec_lo, exec_lo, s13
	s_cbranch_execnz .LBB11_307
; %bb.308:                              ;   in Loop: Header=BB11_280 Depth=1
	s_or_b32 exec_lo, exec_lo, s13
.LBB11_309:                             ;   in Loop: Header=BB11_280 Depth=1
	s_delay_alu instid0(SALU_CYCLE_1)
	s_or_b32 exec_lo, exec_lo, s7
	s_mov_b32 s1, 0
                                        ; implicit-def: $vgpr6
.LBB11_310:                             ;   in Loop: Header=BB11_280 Depth=1
	s_or_saveexec_b32 s0, s6
	v_mov_b32_e32 v18, s1
	s_xor_b32 exec_lo, exec_lo, s0
	s_cbranch_execz .LBB11_312
; %bb.311:                              ;   in Loop: Header=BB11_280 Depth=1
	flat_load_b64 v[14:15], v[22:23]
	v_add_co_u32 v22, vcc_lo, v22, 8
	v_add_nc_u32_e32 v18, -8, v6
	v_add_co_ci_u32_e32 v23, vcc_lo, 0, v23, vcc_lo
	s_waitcnt vmcnt(0) lgkmcnt(0)
	v_and_b32_e32 v16, 0xff, v15
	v_and_b32_e32 v17, 0xff00, v15
	;; [unrolled: 1-line block ×4, first 2 shown]
	v_or3_b32 v14, v14, 0, 0
	s_delay_alu instid0(VALU_DEP_4) | instskip(NEXT) | instid1(VALU_DEP_1)
	v_or_b32_e32 v16, v16, v17
	v_or3_b32 v15, v16, v19, v15
.LBB11_312:                             ;   in Loop: Header=BB11_280 Depth=1
	s_or_b32 exec_lo, exec_lo, s0
                                        ; implicit-def: $sgpr1
	s_delay_alu instid0(SALU_CYCLE_1)
	s_mov_b32 s0, exec_lo
	v_cmpx_gt_u32_e32 8, v18
	s_xor_b32 s6, exec_lo, s0
	s_cbranch_execz .LBB11_318
; %bb.313:                              ;   in Loop: Header=BB11_280 Depth=1
	v_mov_b32_e32 v16, 0
	v_mov_b32_e32 v17, 0
	s_mov_b32 s7, exec_lo
	v_cmpx_ne_u32_e32 0, v18
	s_cbranch_execz .LBB11_317
; %bb.314:                              ;   in Loop: Header=BB11_280 Depth=1
	v_mov_b32_e32 v16, 0
	v_mov_b32_e32 v17, 0
	s_mov_b64 s[0:1], 0
	s_mov_b32 s13, 0
	s_mov_b64 s[4:5], 0
	.p2align	6
.LBB11_315:                             ;   Parent Loop BB11_280 Depth=1
                                        ; =>  This Inner Loop Header: Depth=2
	s_delay_alu instid0(SALU_CYCLE_1)
	v_add_co_u32 v19, vcc_lo, v22, s4
	v_add_co_ci_u32_e32 v20, vcc_lo, s5, v23, vcc_lo
	s_add_u32 s4, s4, 1
	s_addc_u32 s5, s5, 0
	v_cmp_eq_u32_e32 vcc_lo, s4, v18
	flat_load_u8 v6, v[19:20]
	s_waitcnt vmcnt(0) lgkmcnt(0)
	v_dual_mov_b32 v20, s12 :: v_dual_and_b32 v19, 0xffff, v6
	s_delay_alu instid0(VALU_DEP_1) | instskip(SKIP_3) | instid1(VALU_DEP_1)
	v_lshlrev_b64 v[19:20], s0, v[19:20]
	s_add_u32 s0, s0, 8
	s_addc_u32 s1, s1, 0
	s_or_b32 s13, vcc_lo, s13
	v_or_b32_e32 v17, v20, v17
	s_delay_alu instid0(VALU_DEP_2)
	v_or_b32_e32 v16, v19, v16
	s_and_not1_b32 exec_lo, exec_lo, s13
	s_cbranch_execnz .LBB11_315
; %bb.316:                              ;   in Loop: Header=BB11_280 Depth=1
	s_or_b32 exec_lo, exec_lo, s13
.LBB11_317:                             ;   in Loop: Header=BB11_280 Depth=1
	s_delay_alu instid0(SALU_CYCLE_1)
	s_or_b32 exec_lo, exec_lo, s7
	s_mov_b32 s1, 0
                                        ; implicit-def: $vgpr18
.LBB11_318:                             ;   in Loop: Header=BB11_280 Depth=1
	s_or_saveexec_b32 s0, s6
	v_mov_b32_e32 v6, s1
	s_xor_b32 exec_lo, exec_lo, s0
	s_cbranch_execz .LBB11_320
; %bb.319:                              ;   in Loop: Header=BB11_280 Depth=1
	flat_load_b64 v[16:17], v[22:23]
	v_add_co_u32 v22, vcc_lo, v22, 8
	v_add_co_ci_u32_e32 v23, vcc_lo, 0, v23, vcc_lo
	s_waitcnt vmcnt(0) lgkmcnt(0)
	v_and_b32_e32 v6, 0xff, v17
	v_and_b32_e32 v19, 0xff00, v17
	;; [unrolled: 1-line block ×4, first 2 shown]
	v_or3_b32 v16, v16, 0, 0
	s_delay_alu instid0(VALU_DEP_4) | instskip(SKIP_1) | instid1(VALU_DEP_2)
	v_or_b32_e32 v19, v6, v19
	v_add_nc_u32_e32 v6, -8, v18
	v_or3_b32 v17, v19, v20, v17
.LBB11_320:                             ;   in Loop: Header=BB11_280 Depth=1
	s_or_b32 exec_lo, exec_lo, s0
                                        ; implicit-def: $vgpr18_vgpr19
                                        ; implicit-def: $sgpr1
	s_delay_alu instid0(SALU_CYCLE_1) | instskip(NEXT) | instid1(VALU_DEP_1)
	s_mov_b32 s0, exec_lo
	v_cmpx_gt_u32_e32 8, v6
	s_xor_b32 s6, exec_lo, s0
	s_cbranch_execz .LBB11_326
; %bb.321:                              ;   in Loop: Header=BB11_280 Depth=1
	v_mov_b32_e32 v18, 0
	v_mov_b32_e32 v19, 0
	s_mov_b32 s7, exec_lo
	v_cmpx_ne_u32_e32 0, v6
	s_cbranch_execz .LBB11_325
; %bb.322:                              ;   in Loop: Header=BB11_280 Depth=1
	v_mov_b32_e32 v18, 0
	v_mov_b32_e32 v19, 0
	s_mov_b64 s[0:1], 0
	s_mov_b32 s13, 0
	s_mov_b64 s[4:5], 0
	.p2align	6
.LBB11_323:                             ;   Parent Loop BB11_280 Depth=1
                                        ; =>  This Inner Loop Header: Depth=2
	s_delay_alu instid0(SALU_CYCLE_1)
	v_add_co_u32 v20, vcc_lo, v22, s4
	v_add_co_ci_u32_e32 v21, vcc_lo, s5, v23, vcc_lo
	s_add_u32 s4, s4, 1
	s_addc_u32 s5, s5, 0
	v_cmp_eq_u32_e32 vcc_lo, s4, v6
	flat_load_u8 v20, v[20:21]
	s_waitcnt vmcnt(0) lgkmcnt(0)
	v_dual_mov_b32 v21, s12 :: v_dual_and_b32 v20, 0xffff, v20
	s_delay_alu instid0(VALU_DEP_1) | instskip(SKIP_3) | instid1(VALU_DEP_1)
	v_lshlrev_b64 v[20:21], s0, v[20:21]
	s_add_u32 s0, s0, 8
	s_addc_u32 s1, s1, 0
	s_or_b32 s13, vcc_lo, s13
	v_or_b32_e32 v19, v21, v19
	s_delay_alu instid0(VALU_DEP_2)
	v_or_b32_e32 v18, v20, v18
	s_and_not1_b32 exec_lo, exec_lo, s13
	s_cbranch_execnz .LBB11_323
; %bb.324:                              ;   in Loop: Header=BB11_280 Depth=1
	s_or_b32 exec_lo, exec_lo, s13
.LBB11_325:                             ;   in Loop: Header=BB11_280 Depth=1
	s_delay_alu instid0(SALU_CYCLE_1)
	s_or_b32 exec_lo, exec_lo, s7
	s_mov_b32 s1, 0
                                        ; implicit-def: $vgpr6
.LBB11_326:                             ;   in Loop: Header=BB11_280 Depth=1
	s_or_saveexec_b32 s0, s6
	v_mov_b32_e32 v24, s1
	s_xor_b32 exec_lo, exec_lo, s0
	s_cbranch_execz .LBB11_328
; %bb.327:                              ;   in Loop: Header=BB11_280 Depth=1
	flat_load_b64 v[18:19], v[22:23]
	v_add_co_u32 v22, vcc_lo, v22, 8
	v_add_nc_u32_e32 v24, -8, v6
	v_add_co_ci_u32_e32 v23, vcc_lo, 0, v23, vcc_lo
	s_waitcnt vmcnt(0) lgkmcnt(0)
	v_and_b32_e32 v20, 0xff, v19
	v_and_b32_e32 v21, 0xff00, v19
	;; [unrolled: 1-line block ×4, first 2 shown]
	v_or3_b32 v18, v18, 0, 0
	s_delay_alu instid0(VALU_DEP_4) | instskip(NEXT) | instid1(VALU_DEP_1)
	v_or_b32_e32 v20, v20, v21
	v_or3_b32 v19, v20, v25, v19
.LBB11_328:                             ;   in Loop: Header=BB11_280 Depth=1
	s_or_b32 exec_lo, exec_lo, s0
	s_delay_alu instid0(SALU_CYCLE_1)
	s_mov_b32 s0, exec_lo
	v_cmpx_gt_u32_e32 8, v24
	s_xor_b32 s4, exec_lo, s0
	s_cbranch_execz .LBB11_334
; %bb.329:                              ;   in Loop: Header=BB11_280 Depth=1
	v_mov_b32_e32 v20, 0
	v_mov_b32_e32 v21, 0
	s_mov_b32 s5, exec_lo
	v_cmpx_ne_u32_e32 0, v24
	s_cbranch_execz .LBB11_333
; %bb.330:                              ;   in Loop: Header=BB11_280 Depth=1
	v_mov_b32_e32 v20, 0
	v_mov_b32_e32 v21, 0
	s_mov_b64 s[0:1], 0
	s_mov_b32 s6, 0
	.p2align	6
.LBB11_331:                             ;   Parent Loop BB11_280 Depth=1
                                        ; =>  This Inner Loop Header: Depth=2
	flat_load_u8 v6, v[22:23]
	v_dual_mov_b32 v31, s12 :: v_dual_add_nc_u32 v24, -1, v24
	v_add_co_u32 v22, vcc_lo, v22, 1
	v_add_co_ci_u32_e32 v23, vcc_lo, 0, v23, vcc_lo
	s_delay_alu instid0(VALU_DEP_3) | instskip(SKIP_2) | instid1(VALU_DEP_1)
	v_cmp_eq_u32_e32 vcc_lo, 0, v24
	s_waitcnt vmcnt(0) lgkmcnt(0)
	v_and_b32_e32 v30, 0xffff, v6
	v_lshlrev_b64 v[30:31], s0, v[30:31]
	s_add_u32 s0, s0, 8
	s_addc_u32 s1, s1, 0
	s_or_b32 s6, vcc_lo, s6
	s_delay_alu instid0(VALU_DEP_1) | instskip(NEXT) | instid1(VALU_DEP_2)
	v_or_b32_e32 v21, v31, v21
	v_or_b32_e32 v20, v30, v20
	s_and_not1_b32 exec_lo, exec_lo, s6
	s_cbranch_execnz .LBB11_331
; %bb.332:                              ;   in Loop: Header=BB11_280 Depth=1
	s_or_b32 exec_lo, exec_lo, s6
.LBB11_333:                             ;   in Loop: Header=BB11_280 Depth=1
	s_delay_alu instid0(SALU_CYCLE_1)
	s_or_b32 exec_lo, exec_lo, s5
                                        ; implicit-def: $vgpr22_vgpr23
.LBB11_334:                             ;   in Loop: Header=BB11_280 Depth=1
	s_and_not1_saveexec_b32 s0, s4
	s_cbranch_execz .LBB11_336
; %bb.335:                              ;   in Loop: Header=BB11_280 Depth=1
	flat_load_b64 v[20:21], v[22:23]
	s_waitcnt vmcnt(0) lgkmcnt(0)
	v_and_b32_e32 v6, 0xff, v21
	v_and_b32_e32 v22, 0xff00, v21
	;; [unrolled: 1-line block ×4, first 2 shown]
	v_or3_b32 v20, v20, 0, 0
	s_delay_alu instid0(VALU_DEP_4) | instskip(NEXT) | instid1(VALU_DEP_1)
	v_or_b32_e32 v6, v6, v22
	v_or3_b32 v21, v6, v23, v21
.LBB11_336:                             ;   in Loop: Header=BB11_280 Depth=1
	s_or_b32 exec_lo, exec_lo, s0
	v_readfirstlane_b32 s0, v37
	v_mov_b32_e32 v30, 0
	v_mov_b32_e32 v31, 0
	s_delay_alu instid0(VALU_DEP_3) | instskip(NEXT) | instid1(VALU_DEP_1)
	v_cmp_eq_u32_e64 s0, s0, v37
	s_and_saveexec_b32 s1, s0
	s_cbranch_execz .LBB11_342
; %bb.337:                              ;   in Loop: Header=BB11_280 Depth=1
	global_load_b64 v[24:25], v7, s[2:3] offset:24 glc
	s_waitcnt vmcnt(0)
	buffer_gl1_inv
	buffer_gl0_inv
	s_clause 0x1
	global_load_b64 v[22:23], v7, s[2:3] offset:40
	global_load_b64 v[30:31], v7, s[2:3]
	s_mov_b32 s4, exec_lo
	s_waitcnt vmcnt(1)
	v_and_b32_e32 v6, v23, v25
	v_and_b32_e32 v22, v22, v24
	s_delay_alu instid0(VALU_DEP_2) | instskip(NEXT) | instid1(VALU_DEP_2)
	v_mul_lo_u32 v6, v6, 24
	v_mul_hi_u32 v23, v22, 24
	v_mul_lo_u32 v22, v22, 24
	s_delay_alu instid0(VALU_DEP_2) | instskip(SKIP_1) | instid1(VALU_DEP_2)
	v_add_nc_u32_e32 v6, v23, v6
	s_waitcnt vmcnt(0)
	v_add_co_u32 v22, vcc_lo, v30, v22
	s_delay_alu instid0(VALU_DEP_2)
	v_add_co_ci_u32_e32 v23, vcc_lo, v31, v6, vcc_lo
	global_load_b64 v[22:23], v[22:23], off glc
	s_waitcnt vmcnt(0)
	global_atomic_cmpswap_b64 v[30:31], v7, v[22:25], s[2:3] offset:24 glc
	s_waitcnt vmcnt(0)
	buffer_gl1_inv
	buffer_gl0_inv
	v_cmpx_ne_u64_e64 v[30:31], v[24:25]
	s_cbranch_execz .LBB11_341
; %bb.338:                              ;   in Loop: Header=BB11_280 Depth=1
	s_mov_b32 s5, 0
	.p2align	6
.LBB11_339:                             ;   Parent Loop BB11_280 Depth=1
                                        ; =>  This Inner Loop Header: Depth=2
	s_sleep 1
	s_clause 0x1
	global_load_b64 v[22:23], v7, s[2:3] offset:40
	global_load_b64 v[33:34], v7, s[2:3]
	v_dual_mov_b32 v24, v30 :: v_dual_mov_b32 v25, v31
	s_waitcnt vmcnt(1)
	s_delay_alu instid0(VALU_DEP_1) | instskip(SKIP_1) | instid1(VALU_DEP_1)
	v_and_b32_e32 v6, v22, v24
	s_waitcnt vmcnt(0)
	v_mad_u64_u32 v[30:31], null, v6, 24, v[33:34]
	v_and_b32_e32 v33, v23, v25
	s_delay_alu instid0(VALU_DEP_2) | instskip(NEXT) | instid1(VALU_DEP_1)
	v_mov_b32_e32 v6, v31
	v_mad_u64_u32 v[22:23], null, v33, 24, v[6:7]
	s_delay_alu instid0(VALU_DEP_1)
	v_mov_b32_e32 v31, v22
	global_load_b64 v[22:23], v[30:31], off glc
	s_waitcnt vmcnt(0)
	global_atomic_cmpswap_b64 v[30:31], v7, v[22:25], s[2:3] offset:24 glc
	s_waitcnt vmcnt(0)
	buffer_gl1_inv
	buffer_gl0_inv
	v_cmp_eq_u64_e32 vcc_lo, v[30:31], v[24:25]
	s_or_b32 s5, vcc_lo, s5
	s_delay_alu instid0(SALU_CYCLE_1)
	s_and_not1_b32 exec_lo, exec_lo, s5
	s_cbranch_execnz .LBB11_339
; %bb.340:                              ;   in Loop: Header=BB11_280 Depth=1
	s_or_b32 exec_lo, exec_lo, s5
.LBB11_341:                             ;   in Loop: Header=BB11_280 Depth=1
	s_delay_alu instid0(SALU_CYCLE_1)
	s_or_b32 exec_lo, exec_lo, s4
.LBB11_342:                             ;   in Loop: Header=BB11_280 Depth=1
	s_delay_alu instid0(SALU_CYCLE_1)
	s_or_b32 exec_lo, exec_lo, s1
	s_clause 0x1
	global_load_b64 v[33:34], v7, s[2:3] offset:40
	global_load_b128 v[22:25], v7, s[2:3]
	v_readfirstlane_b32 s4, v30
	v_readfirstlane_b32 s5, v31
	s_mov_b32 s1, exec_lo
	s_waitcnt vmcnt(1)
	v_readfirstlane_b32 s6, v33
	v_readfirstlane_b32 s7, v34
	s_delay_alu instid0(VALU_DEP_1) | instskip(NEXT) | instid1(SALU_CYCLE_1)
	s_and_b64 s[6:7], s[4:5], s[6:7]
	s_mul_i32 s13, s7, 24
	s_mul_hi_u32 s14, s6, 24
	s_mul_i32 s15, s6, 24
	s_add_i32 s14, s14, s13
	s_waitcnt vmcnt(0)
	v_add_co_u32 v30, vcc_lo, v22, s15
	v_add_co_ci_u32_e32 v31, vcc_lo, s14, v23, vcc_lo
	s_and_saveexec_b32 s13, s0
	s_cbranch_execz .LBB11_344
; %bb.343:                              ;   in Loop: Header=BB11_280 Depth=1
	v_mov_b32_e32 v6, s1
	global_store_b128 v[30:31], v[6:9], off offset:8
.LBB11_344:                             ;   in Loop: Header=BB11_280 Depth=1
	s_or_b32 exec_lo, exec_lo, s13
	v_cmp_lt_u64_e32 vcc_lo, 56, v[26:27]
	v_or_b32_e32 v6, 0, v1
	v_or_b32_e32 v33, v0, v32
	v_lshl_add_u32 v34, v28, 2, 28
	s_lshl_b64 s[6:7], s[6:7], 12
	s_delay_alu instid0(SALU_CYCLE_1) | instskip(NEXT) | instid1(VALU_DEP_1)
	v_add_co_u32 v24, s1, v24, s6
	v_add_co_ci_u32_e64 v25, s1, s7, v25, s1
	v_dual_cndmask_b32 v1, v6, v1 :: v_dual_cndmask_b32 v0, v33, v0
	v_and_b32_e32 v6, 0x1e0, v34
	s_delay_alu instid0(VALU_DEP_4) | instskip(NEXT) | instid1(VALU_DEP_4)
	v_readfirstlane_b32 s6, v24
	v_readfirstlane_b32 s7, v25
	s_delay_alu instid0(VALU_DEP_3)
	v_and_or_b32 v0, 0xffffff1f, v0, v6
	s_clause 0x3
	global_store_b128 v36, v[0:3], s[6:7]
	global_store_b128 v36, v[10:13], s[6:7] offset:16
	global_store_b128 v36, v[14:17], s[6:7] offset:32
	;; [unrolled: 1-line block ×3, first 2 shown]
	s_and_saveexec_b32 s1, s0
	s_cbranch_execz .LBB11_352
; %bb.345:                              ;   in Loop: Header=BB11_280 Depth=1
	s_clause 0x1
	global_load_b64 v[14:15], v7, s[2:3] offset:32 glc
	global_load_b64 v[0:1], v7, s[2:3] offset:40
	v_dual_mov_b32 v12, s4 :: v_dual_mov_b32 v13, s5
	s_waitcnt vmcnt(0)
	v_readfirstlane_b32 s6, v0
	v_readfirstlane_b32 s7, v1
	s_delay_alu instid0(VALU_DEP_1) | instskip(NEXT) | instid1(SALU_CYCLE_1)
	s_and_b64 s[6:7], s[6:7], s[4:5]
	s_mul_i32 s7, s7, 24
	s_mul_hi_u32 s13, s6, 24
	s_mul_i32 s6, s6, 24
	s_add_i32 s13, s13, s7
	v_add_co_u32 v10, vcc_lo, v22, s6
	v_add_co_ci_u32_e32 v11, vcc_lo, s13, v23, vcc_lo
	s_mov_b32 s6, exec_lo
	global_store_b64 v[10:11], v[14:15], off
	s_waitcnt_vscnt null, 0x0
	global_atomic_cmpswap_b64 v[2:3], v7, v[12:15], s[2:3] offset:32 glc
	s_waitcnt vmcnt(0)
	v_cmpx_ne_u64_e64 v[2:3], v[14:15]
	s_cbranch_execz .LBB11_348
; %bb.346:                              ;   in Loop: Header=BB11_280 Depth=1
	s_mov_b32 s7, 0
.LBB11_347:                             ;   Parent Loop BB11_280 Depth=1
                                        ; =>  This Inner Loop Header: Depth=2
	v_dual_mov_b32 v0, s4 :: v_dual_mov_b32 v1, s5
	s_sleep 1
	global_store_b64 v[10:11], v[2:3], off
	s_waitcnt_vscnt null, 0x0
	global_atomic_cmpswap_b64 v[0:1], v7, v[0:3], s[2:3] offset:32 glc
	s_waitcnt vmcnt(0)
	v_cmp_eq_u64_e32 vcc_lo, v[0:1], v[2:3]
	v_dual_mov_b32 v3, v1 :: v_dual_mov_b32 v2, v0
	s_or_b32 s7, vcc_lo, s7
	s_delay_alu instid0(SALU_CYCLE_1)
	s_and_not1_b32 exec_lo, exec_lo, s7
	s_cbranch_execnz .LBB11_347
.LBB11_348:                             ;   in Loop: Header=BB11_280 Depth=1
	s_or_b32 exec_lo, exec_lo, s6
	global_load_b64 v[0:1], v7, s[2:3] offset:16
	s_mov_b32 s7, exec_lo
	s_mov_b32 s6, exec_lo
	v_mbcnt_lo_u32_b32 v2, s7, 0
	s_delay_alu instid0(VALU_DEP_1)
	v_cmpx_eq_u32_e32 0, v2
	s_cbranch_execz .LBB11_350
; %bb.349:                              ;   in Loop: Header=BB11_280 Depth=1
	s_bcnt1_i32_b32 s7, s7
	s_delay_alu instid0(SALU_CYCLE_1)
	v_mov_b32_e32 v6, s7
	s_waitcnt vmcnt(0)
	global_atomic_add_u64 v[0:1], v[6:7], off offset:8
.LBB11_350:                             ;   in Loop: Header=BB11_280 Depth=1
	s_or_b32 exec_lo, exec_lo, s6
	s_waitcnt vmcnt(0)
	global_load_b64 v[2:3], v[0:1], off offset:16
	s_waitcnt vmcnt(0)
	v_cmp_eq_u64_e32 vcc_lo, 0, v[2:3]
	s_cbranch_vccnz .LBB11_352
; %bb.351:                              ;   in Loop: Header=BB11_280 Depth=1
	global_load_b32 v6, v[0:1], off offset:24
	s_waitcnt vmcnt(0)
	v_and_b32_e32 v0, 0xffffff, v6
	s_waitcnt_vscnt null, 0x0
	global_store_b64 v[2:3], v[6:7], off
	v_readfirstlane_b32 m0, v0
	s_sendmsg sendmsg(MSG_INTERRUPT)
.LBB11_352:                             ;   in Loop: Header=BB11_280 Depth=1
	s_or_b32 exec_lo, exec_lo, s1
	v_add_co_u32 v0, vcc_lo, v24, v36
	v_add_co_ci_u32_e32 v1, vcc_lo, 0, v25, vcc_lo
	s_branch .LBB11_356
	.p2align	6
.LBB11_353:                             ;   in Loop: Header=BB11_356 Depth=2
	s_or_b32 exec_lo, exec_lo, s1
	s_delay_alu instid0(VALU_DEP_1) | instskip(NEXT) | instid1(VALU_DEP_1)
	v_readfirstlane_b32 s1, v2
	s_cmp_eq_u32 s1, 0
	s_cbranch_scc1 .LBB11_355
; %bb.354:                              ;   in Loop: Header=BB11_356 Depth=2
	s_sleep 1
	s_cbranch_execnz .LBB11_356
	s_branch .LBB11_358
	.p2align	6
.LBB11_355:                             ;   in Loop: Header=BB11_280 Depth=1
	s_branch .LBB11_358
.LBB11_356:                             ;   Parent Loop BB11_280 Depth=1
                                        ; =>  This Inner Loop Header: Depth=2
	v_mov_b32_e32 v2, 1
	s_and_saveexec_b32 s1, s0
	s_cbranch_execz .LBB11_353
; %bb.357:                              ;   in Loop: Header=BB11_356 Depth=2
	global_load_b32 v2, v[30:31], off offset:20 glc
	s_waitcnt vmcnt(0)
	buffer_gl1_inv
	buffer_gl0_inv
	v_and_b32_e32 v2, 1, v2
	s_branch .LBB11_353
.LBB11_358:                             ;   in Loop: Header=BB11_280 Depth=1
	global_load_b128 v[0:3], v[0:1], off
	s_and_saveexec_b32 s1, s0
	s_cbranch_execz .LBB11_279
; %bb.359:                              ;   in Loop: Header=BB11_280 Depth=1
	s_clause 0x2
	global_load_b64 v[2:3], v7, s[2:3] offset:40
	global_load_b64 v[14:15], v7, s[2:3] offset:24 glc
	global_load_b64 v[12:13], v7, s[2:3]
	s_waitcnt vmcnt(2)
	v_add_co_u32 v6, vcc_lo, v2, 1
	v_add_co_ci_u32_e32 v16, vcc_lo, 0, v3, vcc_lo
	s_delay_alu instid0(VALU_DEP_2) | instskip(NEXT) | instid1(VALU_DEP_2)
	v_add_co_u32 v10, vcc_lo, v6, s4
	v_add_co_ci_u32_e32 v11, vcc_lo, s5, v16, vcc_lo
	s_delay_alu instid0(VALU_DEP_1) | instskip(SKIP_1) | instid1(VALU_DEP_1)
	v_cmp_eq_u64_e32 vcc_lo, 0, v[10:11]
	v_dual_cndmask_b32 v11, v11, v16 :: v_dual_cndmask_b32 v10, v10, v6
	v_and_b32_e32 v3, v11, v3
	s_delay_alu instid0(VALU_DEP_2) | instskip(NEXT) | instid1(VALU_DEP_1)
	v_and_b32_e32 v2, v10, v2
	v_mul_hi_u32 v6, v2, 24
	v_mul_lo_u32 v2, v2, 24
	s_waitcnt vmcnt(0)
	s_delay_alu instid0(VALU_DEP_1) | instskip(SKIP_2) | instid1(VALU_DEP_1)
	v_add_co_u32 v2, vcc_lo, v12, v2
	v_mov_b32_e32 v12, v14
	v_mul_lo_u32 v3, v3, 24
	v_add_nc_u32_e32 v3, v6, v3
	s_delay_alu instid0(VALU_DEP_1)
	v_add_co_ci_u32_e32 v3, vcc_lo, v13, v3, vcc_lo
	v_mov_b32_e32 v13, v15
	global_store_b64 v[2:3], v[14:15], off
	s_waitcnt_vscnt null, 0x0
	global_atomic_cmpswap_b64 v[12:13], v7, v[10:13], s[2:3] offset:24 glc
	s_waitcnt vmcnt(0)
	v_cmp_ne_u64_e32 vcc_lo, v[12:13], v[14:15]
	s_and_b32 exec_lo, exec_lo, vcc_lo
	s_cbranch_execz .LBB11_279
; %bb.360:                              ;   in Loop: Header=BB11_280 Depth=1
	s_mov_b32 s0, 0
.LBB11_361:                             ;   Parent Loop BB11_280 Depth=1
                                        ; =>  This Inner Loop Header: Depth=2
	s_sleep 1
	global_store_b64 v[2:3], v[12:13], off
	s_waitcnt_vscnt null, 0x0
	global_atomic_cmpswap_b64 v[14:15], v7, v[10:13], s[2:3] offset:24 glc
	s_waitcnt vmcnt(0)
	v_cmp_eq_u64_e32 vcc_lo, v[14:15], v[12:13]
	v_dual_mov_b32 v12, v14 :: v_dual_mov_b32 v13, v15
	s_or_b32 s0, vcc_lo, s0
	s_delay_alu instid0(SALU_CYCLE_1)
	s_and_not1_b32 exec_lo, exec_lo, s0
	s_cbranch_execnz .LBB11_361
	s_branch .LBB11_279
.LBB11_362:
	s_or_b32 exec_lo, exec_lo, s11
                                        ; implicit-def: $vgpr36
                                        ; implicit-def: $vgpr37
.LBB11_363:
	s_and_not1_saveexec_b32 s1, s10
	s_cbranch_execz .LBB11_391
; %bb.364:
	v_readfirstlane_b32 s0, v37
	v_mov_b32_e32 v8, 0
	v_mov_b32_e32 v9, 0
	s_delay_alu instid0(VALU_DEP_3) | instskip(NEXT) | instid1(VALU_DEP_1)
	v_cmp_eq_u32_e64 s0, s0, v37
	s_and_saveexec_b32 s4, s0
	s_cbranch_execz .LBB11_370
; %bb.365:
	s_waitcnt vmcnt(0)
	v_mov_b32_e32 v2, 0
	s_mov_b32 s5, exec_lo
	global_load_b64 v[5:6], v2, s[2:3] offset:24 glc
	s_waitcnt vmcnt(0)
	buffer_gl1_inv
	buffer_gl0_inv
	s_clause 0x1
	global_load_b64 v[3:4], v2, s[2:3] offset:40
	global_load_b64 v[7:8], v2, s[2:3]
	s_waitcnt vmcnt(1)
	v_and_b32_e32 v3, v3, v5
	v_and_b32_e32 v4, v4, v6
	s_delay_alu instid0(VALU_DEP_2) | instskip(NEXT) | instid1(VALU_DEP_2)
	v_mul_hi_u32 v9, v3, 24
	v_mul_lo_u32 v4, v4, 24
	v_mul_lo_u32 v3, v3, 24
	s_delay_alu instid0(VALU_DEP_2) | instskip(SKIP_1) | instid1(VALU_DEP_2)
	v_add_nc_u32_e32 v4, v9, v4
	s_waitcnt vmcnt(0)
	v_add_co_u32 v3, vcc_lo, v7, v3
	s_delay_alu instid0(VALU_DEP_2)
	v_add_co_ci_u32_e32 v4, vcc_lo, v8, v4, vcc_lo
	global_load_b64 v[3:4], v[3:4], off glc
	s_waitcnt vmcnt(0)
	global_atomic_cmpswap_b64 v[8:9], v2, v[3:6], s[2:3] offset:24 glc
	s_waitcnt vmcnt(0)
	buffer_gl1_inv
	buffer_gl0_inv
	v_cmpx_ne_u64_e64 v[8:9], v[5:6]
	s_cbranch_execz .LBB11_369
; %bb.366:
	s_mov_b32 s6, 0
	.p2align	6
.LBB11_367:                             ; =>This Inner Loop Header: Depth=1
	s_sleep 1
	s_clause 0x1
	global_load_b64 v[3:4], v2, s[2:3] offset:40
	global_load_b64 v[10:11], v2, s[2:3]
	v_dual_mov_b32 v5, v8 :: v_dual_mov_b32 v6, v9
	s_waitcnt vmcnt(1)
	s_delay_alu instid0(VALU_DEP_1) | instskip(NEXT) | instid1(VALU_DEP_2)
	v_and_b32_e32 v3, v3, v5
	v_and_b32_e32 v4, v4, v6
	s_waitcnt vmcnt(0)
	s_delay_alu instid0(VALU_DEP_2) | instskip(NEXT) | instid1(VALU_DEP_1)
	v_mad_u64_u32 v[7:8], null, v3, 24, v[10:11]
	v_mov_b32_e32 v3, v8
	s_delay_alu instid0(VALU_DEP_1)
	v_mad_u64_u32 v[8:9], null, v4, 24, v[3:4]
	global_load_b64 v[3:4], v[7:8], off glc
	s_waitcnt vmcnt(0)
	global_atomic_cmpswap_b64 v[8:9], v2, v[3:6], s[2:3] offset:24 glc
	s_waitcnt vmcnt(0)
	buffer_gl1_inv
	buffer_gl0_inv
	v_cmp_eq_u64_e32 vcc_lo, v[8:9], v[5:6]
	s_or_b32 s6, vcc_lo, s6
	s_delay_alu instid0(SALU_CYCLE_1)
	s_and_not1_b32 exec_lo, exec_lo, s6
	s_cbranch_execnz .LBB11_367
; %bb.368:
	s_or_b32 exec_lo, exec_lo, s6
.LBB11_369:
	s_delay_alu instid0(SALU_CYCLE_1)
	s_or_b32 exec_lo, exec_lo, s5
.LBB11_370:
	s_delay_alu instid0(SALU_CYCLE_1)
	s_or_b32 exec_lo, exec_lo, s4
	s_waitcnt vmcnt(0)
	v_mov_b32_e32 v2, 0
	v_readfirstlane_b32 s4, v8
	v_readfirstlane_b32 s5, v9
	s_mov_b32 s10, exec_lo
	s_clause 0x1
	global_load_b64 v[10:11], v2, s[2:3] offset:40
	global_load_b128 v[4:7], v2, s[2:3]
	s_waitcnt vmcnt(1)
	v_readfirstlane_b32 s6, v10
	v_readfirstlane_b32 s7, v11
	s_delay_alu instid0(VALU_DEP_1) | instskip(NEXT) | instid1(SALU_CYCLE_1)
	s_and_b64 s[6:7], s[4:5], s[6:7]
	s_mul_i32 s11, s7, 24
	s_mul_hi_u32 s12, s6, 24
	s_mul_i32 s13, s6, 24
	s_add_i32 s12, s12, s11
	s_waitcnt vmcnt(0)
	v_add_co_u32 v8, vcc_lo, v4, s13
	v_add_co_ci_u32_e32 v9, vcc_lo, s12, v5, vcc_lo
	s_and_saveexec_b32 s11, s0
	s_cbranch_execz .LBB11_372
; %bb.371:
	v_dual_mov_b32 v10, s10 :: v_dual_mov_b32 v11, v2
	v_dual_mov_b32 v12, 2 :: v_dual_mov_b32 v13, 1
	global_store_b128 v[8:9], v[10:13], off offset:8
.LBB11_372:
	s_or_b32 exec_lo, exec_lo, s11
	s_lshl_b64 s[6:7], s[6:7], 12
	s_mov_b32 s12, 0
	v_add_co_u32 v6, vcc_lo, v6, s6
	v_add_co_ci_u32_e32 v7, vcc_lo, s7, v7, vcc_lo
	s_mov_b32 s13, s12
	s_delay_alu instid0(VALU_DEP_2)
	v_readfirstlane_b32 s6, v6
	v_add_co_u32 v6, vcc_lo, v6, v36
	s_mov_b32 s14, s12
	s_mov_b32 s15, s12
	v_and_or_b32 v0, 0xffffff1f, v0, 32
	v_dual_mov_b32 v3, v2 :: v_dual_mov_b32 v10, s12
	v_readfirstlane_b32 s7, v7
	v_add_co_ci_u32_e32 v7, vcc_lo, 0, v7, vcc_lo
	v_dual_mov_b32 v11, s13 :: v_dual_mov_b32 v12, s14
	v_mov_b32_e32 v13, s15
	s_clause 0x3
	global_store_b128 v36, v[0:3], s[6:7]
	global_store_b128 v36, v[10:13], s[6:7] offset:16
	global_store_b128 v36, v[10:13], s[6:7] offset:32
	;; [unrolled: 1-line block ×3, first 2 shown]
	s_and_saveexec_b32 s6, s0
	s_cbranch_execz .LBB11_380
; %bb.373:
	v_dual_mov_b32 v10, 0 :: v_dual_mov_b32 v11, s4
	v_mov_b32_e32 v12, s5
	s_clause 0x1
	global_load_b64 v[13:14], v10, s[2:3] offset:32 glc
	global_load_b64 v[0:1], v10, s[2:3] offset:40
	s_waitcnt vmcnt(0)
	v_readfirstlane_b32 s10, v0
	v_readfirstlane_b32 s11, v1
	s_delay_alu instid0(VALU_DEP_1) | instskip(NEXT) | instid1(SALU_CYCLE_1)
	s_and_b64 s[10:11], s[10:11], s[4:5]
	s_mul_i32 s7, s11, 24
	s_mul_hi_u32 s11, s10, 24
	s_mul_i32 s10, s10, 24
	s_add_i32 s11, s11, s7
	v_add_co_u32 v4, vcc_lo, v4, s10
	v_add_co_ci_u32_e32 v5, vcc_lo, s11, v5, vcc_lo
	s_mov_b32 s7, exec_lo
	global_store_b64 v[4:5], v[13:14], off
	s_waitcnt_vscnt null, 0x0
	global_atomic_cmpswap_b64 v[2:3], v10, v[11:14], s[2:3] offset:32 glc
	s_waitcnt vmcnt(0)
	v_cmpx_ne_u64_e64 v[2:3], v[13:14]
	s_cbranch_execz .LBB11_376
; %bb.374:
	s_mov_b32 s10, 0
.LBB11_375:                             ; =>This Inner Loop Header: Depth=1
	v_dual_mov_b32 v0, s4 :: v_dual_mov_b32 v1, s5
	s_sleep 1
	global_store_b64 v[4:5], v[2:3], off
	s_waitcnt_vscnt null, 0x0
	global_atomic_cmpswap_b64 v[0:1], v10, v[0:3], s[2:3] offset:32 glc
	s_waitcnt vmcnt(0)
	v_cmp_eq_u64_e32 vcc_lo, v[0:1], v[2:3]
	v_dual_mov_b32 v3, v1 :: v_dual_mov_b32 v2, v0
	s_or_b32 s10, vcc_lo, s10
	s_delay_alu instid0(SALU_CYCLE_1)
	s_and_not1_b32 exec_lo, exec_lo, s10
	s_cbranch_execnz .LBB11_375
.LBB11_376:
	s_or_b32 exec_lo, exec_lo, s7
	v_mov_b32_e32 v3, 0
	s_mov_b32 s10, exec_lo
	s_mov_b32 s7, exec_lo
	v_mbcnt_lo_u32_b32 v2, s10, 0
	global_load_b64 v[0:1], v3, s[2:3] offset:16
	v_cmpx_eq_u32_e32 0, v2
	s_cbranch_execz .LBB11_378
; %bb.377:
	s_bcnt1_i32_b32 s10, s10
	s_delay_alu instid0(SALU_CYCLE_1)
	v_mov_b32_e32 v2, s10
	s_waitcnt vmcnt(0)
	global_atomic_add_u64 v[0:1], v[2:3], off offset:8
.LBB11_378:
	s_or_b32 exec_lo, exec_lo, s7
	s_waitcnt vmcnt(0)
	global_load_b64 v[2:3], v[0:1], off offset:16
	s_waitcnt vmcnt(0)
	v_cmp_eq_u64_e32 vcc_lo, 0, v[2:3]
	s_cbranch_vccnz .LBB11_380
; %bb.379:
	global_load_b32 v0, v[0:1], off offset:24
	s_waitcnt vmcnt(0)
	v_dual_mov_b32 v1, 0 :: v_dual_and_b32 v4, 0xffffff, v0
	s_waitcnt_vscnt null, 0x0
	global_store_b64 v[2:3], v[0:1], off
	v_readfirstlane_b32 m0, v4
	s_sendmsg sendmsg(MSG_INTERRUPT)
.LBB11_380:
	s_or_b32 exec_lo, exec_lo, s6
	s_branch .LBB11_384
	.p2align	6
.LBB11_381:                             ;   in Loop: Header=BB11_384 Depth=1
	s_or_b32 exec_lo, exec_lo, s6
	s_delay_alu instid0(VALU_DEP_1) | instskip(NEXT) | instid1(VALU_DEP_1)
	v_readfirstlane_b32 s6, v0
	s_cmp_eq_u32 s6, 0
	s_cbranch_scc1 .LBB11_383
; %bb.382:                              ;   in Loop: Header=BB11_384 Depth=1
	s_sleep 1
	s_cbranch_execnz .LBB11_384
	s_branch .LBB11_386
	.p2align	6
.LBB11_383:
	s_branch .LBB11_386
.LBB11_384:                             ; =>This Inner Loop Header: Depth=1
	v_mov_b32_e32 v0, 1
	s_and_saveexec_b32 s6, s0
	s_cbranch_execz .LBB11_381
; %bb.385:                              ;   in Loop: Header=BB11_384 Depth=1
	global_load_b32 v0, v[8:9], off offset:20 glc
	s_waitcnt vmcnt(0)
	buffer_gl1_inv
	buffer_gl0_inv
	v_and_b32_e32 v0, 1, v0
	s_branch .LBB11_381
.LBB11_386:
	global_load_b64 v[0:1], v[6:7], off
	s_and_saveexec_b32 s6, s0
	s_cbranch_execz .LBB11_390
; %bb.387:
	v_mov_b32_e32 v8, 0
	s_clause 0x2
	global_load_b64 v[4:5], v8, s[2:3] offset:40
	global_load_b64 v[9:10], v8, s[2:3] offset:24 glc
	global_load_b64 v[6:7], v8, s[2:3]
	s_waitcnt vmcnt(2)
	v_add_co_u32 v11, vcc_lo, v4, 1
	v_add_co_ci_u32_e32 v12, vcc_lo, 0, v5, vcc_lo
	s_delay_alu instid0(VALU_DEP_2) | instskip(NEXT) | instid1(VALU_DEP_2)
	v_add_co_u32 v2, vcc_lo, v11, s4
	v_add_co_ci_u32_e32 v3, vcc_lo, s5, v12, vcc_lo
	s_delay_alu instid0(VALU_DEP_1) | instskip(SKIP_1) | instid1(VALU_DEP_1)
	v_cmp_eq_u64_e32 vcc_lo, 0, v[2:3]
	v_dual_cndmask_b32 v3, v3, v12 :: v_dual_cndmask_b32 v2, v2, v11
	v_and_b32_e32 v5, v3, v5
	s_delay_alu instid0(VALU_DEP_2) | instskip(NEXT) | instid1(VALU_DEP_2)
	v_and_b32_e32 v4, v2, v4
	v_mul_lo_u32 v5, v5, 24
	s_delay_alu instid0(VALU_DEP_2) | instskip(SKIP_1) | instid1(VALU_DEP_2)
	v_mul_hi_u32 v11, v4, 24
	v_mul_lo_u32 v4, v4, 24
	v_add_nc_u32_e32 v5, v11, v5
	s_waitcnt vmcnt(0)
	s_delay_alu instid0(VALU_DEP_2) | instskip(SKIP_1) | instid1(VALU_DEP_3)
	v_add_co_u32 v6, vcc_lo, v6, v4
	v_mov_b32_e32 v4, v9
	v_add_co_ci_u32_e32 v7, vcc_lo, v7, v5, vcc_lo
	v_mov_b32_e32 v5, v10
	global_store_b64 v[6:7], v[9:10], off
	s_waitcnt_vscnt null, 0x0
	global_atomic_cmpswap_b64 v[4:5], v8, v[2:5], s[2:3] offset:24 glc
	s_waitcnt vmcnt(0)
	v_cmp_ne_u64_e32 vcc_lo, v[4:5], v[9:10]
	s_and_b32 exec_lo, exec_lo, vcc_lo
	s_cbranch_execz .LBB11_390
; %bb.388:
	s_mov_b32 s0, 0
.LBB11_389:                             ; =>This Inner Loop Header: Depth=1
	s_sleep 1
	global_store_b64 v[6:7], v[4:5], off
	s_waitcnt_vscnt null, 0x0
	global_atomic_cmpswap_b64 v[9:10], v8, v[2:5], s[2:3] offset:24 glc
	s_waitcnt vmcnt(0)
	v_cmp_eq_u64_e32 vcc_lo, v[9:10], v[4:5]
	v_dual_mov_b32 v4, v9 :: v_dual_mov_b32 v5, v10
	s_or_b32 s0, vcc_lo, s0
	s_delay_alu instid0(SALU_CYCLE_1)
	s_and_not1_b32 exec_lo, exec_lo, s0
	s_cbranch_execnz .LBB11_389
.LBB11_390:
	s_or_b32 exec_lo, exec_lo, s6
.LBB11_391:
	s_delay_alu instid0(SALU_CYCLE_1)
	s_or_b32 exec_lo, exec_lo, s1
	s_getpc_b64 s[0:1]
	s_add_u32 s0, s0, .str.1@rel32@lo+4
	s_addc_u32 s1, s1, .str.1@rel32@hi+12
	s_getpc_b64 s[2:3]
	s_add_u32 s2, s2, .str.1@rel32@lo+10
	s_addc_u32 s3, s3, .str.1@rel32@hi+18
	s_sub_i32 s4, s2, s0
	s_getpc_b64 s[2:3]
	s_add_u32 s2, s2, __ockl_fprintf_append_string_n@rel32@lo+4
	s_addc_u32 s3, s3, __ockl_fprintf_append_string_n@rel32@hi+12
	s_ashr_i32 s5, s4, 31
	s_waitcnt vmcnt(0)
	v_dual_mov_b32 v2, s0 :: v_dual_mov_b32 v3, s1
	v_dual_mov_b32 v4, s4 :: v_dual_mov_b32 v5, s5
	v_mov_b32_e32 v6, 1
	s_swappc_b64 s[30:31], s[2:3]
	s_trap 2
	s_sendmsg_rtn_b32 s0, sendmsg(MSG_RTN_GET_DOORBELL)
	s_mov_b32 ttmp2, m0
	s_waitcnt lgkmcnt(0)
	s_and_b32 s0, s0, 0x3ff
	s_delay_alu instid0(SALU_CYCLE_1) | instskip(NEXT) | instid1(SALU_CYCLE_1)
	s_bitset1_b32 s0, 10
	s_mov_b32 m0, s0
	s_sendmsg sendmsg(MSG_INTERRUPT)
	s_mov_b32 m0, ttmp2
.LBB11_392:                             ; =>This Inner Loop Header: Depth=1
	s_sethalt 5
	s_branch .LBB11_392
.Lfunc_end11:
	.size	__assert_fail, .Lfunc_end11-__assert_fail
                                        ; -- End function
	.section	.AMDGPU.csdata,"",@progbits
; Function info:
; codeLenInByte = 16112
; NumSgprs: 36
; NumVgprs: 50
; ScratchSize: 64
; MemoryBound: 0
	.section	.text._ZN5aiter32wv_splitk_small_fp16_bf16_kernelI6__halfLi64ELi1ELi1ELi8ELi4ELi1EEEviiPKT_S4_PS2_ii,"axG",@progbits,_ZN5aiter32wv_splitk_small_fp16_bf16_kernelI6__halfLi64ELi1ELi1ELi8ELi4ELi1EEEviiPKT_S4_PS2_ii,comdat
	.protected	_ZN5aiter32wv_splitk_small_fp16_bf16_kernelI6__halfLi64ELi1ELi1ELi8ELi4ELi1EEEviiPKT_S4_PS2_ii ; -- Begin function _ZN5aiter32wv_splitk_small_fp16_bf16_kernelI6__halfLi64ELi1ELi1ELi8ELi4ELi1EEEviiPKT_S4_PS2_ii
	.globl	_ZN5aiter32wv_splitk_small_fp16_bf16_kernelI6__halfLi64ELi1ELi1ELi8ELi4ELi1EEEviiPKT_S4_PS2_ii
	.p2align	8
	.type	_ZN5aiter32wv_splitk_small_fp16_bf16_kernelI6__halfLi64ELi1ELi1ELi8ELi4ELi1EEEviiPKT_S4_PS2_ii,@function
_ZN5aiter32wv_splitk_small_fp16_bf16_kernelI6__halfLi64ELi1ELi1ELi8ELi4ELi1EEEviiPKT_S4_PS2_ii: ; @_ZN5aiter32wv_splitk_small_fp16_bf16_kernelI6__halfLi64ELi1ELi1ELi8ELi4ELi1EEEviiPKT_S4_PS2_ii
; %bb.0:
	s_add_u32 s8, s0, 40
	s_addc_u32 s9, s1, 0
	s_getpc_b64 s[0:1]
	s_add_u32 s0, s0, __PRETTY_FUNCTION__._ZN5aiter32wv_splitk_small_fp16_bf16_kernelI6__halfLi64ELi1ELi1ELi8ELi4ELi1EEEviiPKT_S4_PS2_ii@rel32@lo+4
	s_addc_u32 s1, s1, __PRETTY_FUNCTION__._ZN5aiter32wv_splitk_small_fp16_bf16_kernelI6__halfLi64ELi1ELi1ELi8ELi4ELi1EEEviiPKT_S4_PS2_ii@rel32@hi+12
	v_dual_mov_b32 v0, 0x2a6 :: v_dual_mov_b32 v1, s0
	v_mov_b32_e32 v2, s1
	s_mov_b32 s32, 0
	s_getpc_b64 s[2:3]
	s_add_u32 s2, s2, __assert_fail@rel32@lo+4
	s_addc_u32 s3, s3, __assert_fail@rel32@hi+12
	s_delay_alu instid0(SALU_CYCLE_1)
	s_swappc_b64 s[30:31], s[2:3]
	.section	.rodata,"a",@progbits
	.p2align	6, 0x0
	.amdhsa_kernel _ZN5aiter32wv_splitk_small_fp16_bf16_kernelI6__halfLi64ELi1ELi1ELi8ELi4ELi1EEEviiPKT_S4_PS2_ii
		.amdhsa_group_segment_fixed_size 0
		.amdhsa_private_segment_fixed_size 64
		.amdhsa_kernarg_size 296
		.amdhsa_user_sgpr_count 15
		.amdhsa_user_sgpr_dispatch_ptr 0
		.amdhsa_user_sgpr_queue_ptr 0
		.amdhsa_user_sgpr_kernarg_segment_ptr 1
		.amdhsa_user_sgpr_dispatch_id 0
		.amdhsa_user_sgpr_private_segment_size 0
		.amdhsa_wavefront_size32 1
		.amdhsa_uses_dynamic_stack 0
		.amdhsa_enable_private_segment 1
		.amdhsa_system_sgpr_workgroup_id_x 1
		.amdhsa_system_sgpr_workgroup_id_y 0
		.amdhsa_system_sgpr_workgroup_id_z 0
		.amdhsa_system_sgpr_workgroup_info 0
		.amdhsa_system_vgpr_workitem_id 0
		.amdhsa_next_free_vgpr 50
		.amdhsa_next_free_sgpr 34
		.amdhsa_reserve_vcc 1
		.amdhsa_float_round_mode_32 0
		.amdhsa_float_round_mode_16_64 0
		.amdhsa_float_denorm_mode_32 3
		.amdhsa_float_denorm_mode_16_64 3
		.amdhsa_dx10_clamp 1
		.amdhsa_ieee_mode 1
		.amdhsa_fp16_overflow 0
		.amdhsa_workgroup_processor_mode 1
		.amdhsa_memory_ordered 1
		.amdhsa_forward_progress 0
		.amdhsa_shared_vgpr_count 0
		.amdhsa_exception_fp_ieee_invalid_op 0
		.amdhsa_exception_fp_denorm_src 0
		.amdhsa_exception_fp_ieee_div_zero 0
		.amdhsa_exception_fp_ieee_overflow 0
		.amdhsa_exception_fp_ieee_underflow 0
		.amdhsa_exception_fp_ieee_inexact 0
		.amdhsa_exception_int_div_zero 0
	.end_amdhsa_kernel
	.section	.text._ZN5aiter32wv_splitk_small_fp16_bf16_kernelI6__halfLi64ELi1ELi1ELi8ELi4ELi1EEEviiPKT_S4_PS2_ii,"axG",@progbits,_ZN5aiter32wv_splitk_small_fp16_bf16_kernelI6__halfLi64ELi1ELi1ELi8ELi4ELi1EEEviiPKT_S4_PS2_ii,comdat
.Lfunc_end12:
	.size	_ZN5aiter32wv_splitk_small_fp16_bf16_kernelI6__halfLi64ELi1ELi1ELi8ELi4ELi1EEEviiPKT_S4_PS2_ii, .Lfunc_end12-_ZN5aiter32wv_splitk_small_fp16_bf16_kernelI6__halfLi64ELi1ELi1ELi8ELi4ELi1EEEviiPKT_S4_PS2_ii
                                        ; -- End function
	.section	.AMDGPU.csdata,"",@progbits
; Kernel info:
; codeLenInByte = 76
; NumSgprs: 36
; NumVgprs: 50
; ScratchSize: 64
; MemoryBound: 0
; FloatMode: 240
; IeeeMode: 1
; LDSByteSize: 0 bytes/workgroup (compile time only)
; SGPRBlocks: 4
; VGPRBlocks: 6
; NumSGPRsForWavesPerEU: 36
; NumVGPRsForWavesPerEU: 50
; Occupancy: 16
; WaveLimiterHint : 1
; COMPUTE_PGM_RSRC2:SCRATCH_EN: 1
; COMPUTE_PGM_RSRC2:USER_SGPR: 15
; COMPUTE_PGM_RSRC2:TRAP_HANDLER: 0
; COMPUTE_PGM_RSRC2:TGID_X_EN: 1
; COMPUTE_PGM_RSRC2:TGID_Y_EN: 0
; COMPUTE_PGM_RSRC2:TGID_Z_EN: 0
; COMPUTE_PGM_RSRC2:TIDIG_COMP_CNT: 0
	.section	.text._ZN5aiter32wv_splitk_small_fp16_bf16_kernelI6__halfLi64ELi1ELi1ELi8ELi4ELi2EEEviiPKT_S4_PS2_ii,"axG",@progbits,_ZN5aiter32wv_splitk_small_fp16_bf16_kernelI6__halfLi64ELi1ELi1ELi8ELi4ELi2EEEviiPKT_S4_PS2_ii,comdat
	.protected	_ZN5aiter32wv_splitk_small_fp16_bf16_kernelI6__halfLi64ELi1ELi1ELi8ELi4ELi2EEEviiPKT_S4_PS2_ii ; -- Begin function _ZN5aiter32wv_splitk_small_fp16_bf16_kernelI6__halfLi64ELi1ELi1ELi8ELi4ELi2EEEviiPKT_S4_PS2_ii
	.globl	_ZN5aiter32wv_splitk_small_fp16_bf16_kernelI6__halfLi64ELi1ELi1ELi8ELi4ELi2EEEviiPKT_S4_PS2_ii
	.p2align	8
	.type	_ZN5aiter32wv_splitk_small_fp16_bf16_kernelI6__halfLi64ELi1ELi1ELi8ELi4ELi2EEEviiPKT_S4_PS2_ii,@function
_ZN5aiter32wv_splitk_small_fp16_bf16_kernelI6__halfLi64ELi1ELi1ELi8ELi4ELi2EEEviiPKT_S4_PS2_ii: ; @_ZN5aiter32wv_splitk_small_fp16_bf16_kernelI6__halfLi64ELi1ELi1ELi8ELi4ELi2EEEviiPKT_S4_PS2_ii
; %bb.0:
	s_add_u32 s8, s0, 40
	s_addc_u32 s9, s1, 0
	s_getpc_b64 s[0:1]
	s_add_u32 s0, s0, __PRETTY_FUNCTION__._ZN5aiter32wv_splitk_small_fp16_bf16_kernelI6__halfLi64ELi1ELi1ELi8ELi4ELi2EEEviiPKT_S4_PS2_ii@rel32@lo+4
	s_addc_u32 s1, s1, __PRETTY_FUNCTION__._ZN5aiter32wv_splitk_small_fp16_bf16_kernelI6__halfLi64ELi1ELi1ELi8ELi4ELi2EEEviiPKT_S4_PS2_ii@rel32@hi+12
	v_dual_mov_b32 v0, 0x2a6 :: v_dual_mov_b32 v1, s0
	v_mov_b32_e32 v2, s1
	s_mov_b32 s32, 0
	s_getpc_b64 s[2:3]
	s_add_u32 s2, s2, __assert_fail@rel32@lo+4
	s_addc_u32 s3, s3, __assert_fail@rel32@hi+12
	s_delay_alu instid0(SALU_CYCLE_1)
	s_swappc_b64 s[30:31], s[2:3]
	.section	.rodata,"a",@progbits
	.p2align	6, 0x0
	.amdhsa_kernel _ZN5aiter32wv_splitk_small_fp16_bf16_kernelI6__halfLi64ELi1ELi1ELi8ELi4ELi2EEEviiPKT_S4_PS2_ii
		.amdhsa_group_segment_fixed_size 0
		.amdhsa_private_segment_fixed_size 64
		.amdhsa_kernarg_size 296
		.amdhsa_user_sgpr_count 15
		.amdhsa_user_sgpr_dispatch_ptr 0
		.amdhsa_user_sgpr_queue_ptr 0
		.amdhsa_user_sgpr_kernarg_segment_ptr 1
		.amdhsa_user_sgpr_dispatch_id 0
		.amdhsa_user_sgpr_private_segment_size 0
		.amdhsa_wavefront_size32 1
		.amdhsa_uses_dynamic_stack 0
		.amdhsa_enable_private_segment 1
		.amdhsa_system_sgpr_workgroup_id_x 1
		.amdhsa_system_sgpr_workgroup_id_y 0
		.amdhsa_system_sgpr_workgroup_id_z 0
		.amdhsa_system_sgpr_workgroup_info 0
		.amdhsa_system_vgpr_workitem_id 0
		.amdhsa_next_free_vgpr 50
		.amdhsa_next_free_sgpr 34
		.amdhsa_reserve_vcc 1
		.amdhsa_float_round_mode_32 0
		.amdhsa_float_round_mode_16_64 0
		.amdhsa_float_denorm_mode_32 3
		.amdhsa_float_denorm_mode_16_64 3
		.amdhsa_dx10_clamp 1
		.amdhsa_ieee_mode 1
		.amdhsa_fp16_overflow 0
		.amdhsa_workgroup_processor_mode 1
		.amdhsa_memory_ordered 1
		.amdhsa_forward_progress 0
		.amdhsa_shared_vgpr_count 0
		.amdhsa_exception_fp_ieee_invalid_op 0
		.amdhsa_exception_fp_denorm_src 0
		.amdhsa_exception_fp_ieee_div_zero 0
		.amdhsa_exception_fp_ieee_overflow 0
		.amdhsa_exception_fp_ieee_underflow 0
		.amdhsa_exception_fp_ieee_inexact 0
		.amdhsa_exception_int_div_zero 0
	.end_amdhsa_kernel
	.section	.text._ZN5aiter32wv_splitk_small_fp16_bf16_kernelI6__halfLi64ELi1ELi1ELi8ELi4ELi2EEEviiPKT_S4_PS2_ii,"axG",@progbits,_ZN5aiter32wv_splitk_small_fp16_bf16_kernelI6__halfLi64ELi1ELi1ELi8ELi4ELi2EEEviiPKT_S4_PS2_ii,comdat
.Lfunc_end13:
	.size	_ZN5aiter32wv_splitk_small_fp16_bf16_kernelI6__halfLi64ELi1ELi1ELi8ELi4ELi2EEEviiPKT_S4_PS2_ii, .Lfunc_end13-_ZN5aiter32wv_splitk_small_fp16_bf16_kernelI6__halfLi64ELi1ELi1ELi8ELi4ELi2EEEviiPKT_S4_PS2_ii
                                        ; -- End function
	.section	.AMDGPU.csdata,"",@progbits
; Kernel info:
; codeLenInByte = 76
; NumSgprs: 36
; NumVgprs: 50
; ScratchSize: 64
; MemoryBound: 0
; FloatMode: 240
; IeeeMode: 1
; LDSByteSize: 0 bytes/workgroup (compile time only)
; SGPRBlocks: 4
; VGPRBlocks: 6
; NumSGPRsForWavesPerEU: 36
; NumVGPRsForWavesPerEU: 50
; Occupancy: 16
; WaveLimiterHint : 1
; COMPUTE_PGM_RSRC2:SCRATCH_EN: 1
; COMPUTE_PGM_RSRC2:USER_SGPR: 15
; COMPUTE_PGM_RSRC2:TRAP_HANDLER: 0
; COMPUTE_PGM_RSRC2:TGID_X_EN: 1
; COMPUTE_PGM_RSRC2:TGID_Y_EN: 0
; COMPUTE_PGM_RSRC2:TGID_Z_EN: 0
; COMPUTE_PGM_RSRC2:TIDIG_COMP_CNT: 0
	.section	.text._ZN5aiter32wv_splitk_small_fp16_bf16_kernelI6__halfLi64ELi1ELi1ELi8ELi4ELi3EEEviiPKT_S4_PS2_ii,"axG",@progbits,_ZN5aiter32wv_splitk_small_fp16_bf16_kernelI6__halfLi64ELi1ELi1ELi8ELi4ELi3EEEviiPKT_S4_PS2_ii,comdat
	.protected	_ZN5aiter32wv_splitk_small_fp16_bf16_kernelI6__halfLi64ELi1ELi1ELi8ELi4ELi3EEEviiPKT_S4_PS2_ii ; -- Begin function _ZN5aiter32wv_splitk_small_fp16_bf16_kernelI6__halfLi64ELi1ELi1ELi8ELi4ELi3EEEviiPKT_S4_PS2_ii
	.globl	_ZN5aiter32wv_splitk_small_fp16_bf16_kernelI6__halfLi64ELi1ELi1ELi8ELi4ELi3EEEviiPKT_S4_PS2_ii
	.p2align	8
	.type	_ZN5aiter32wv_splitk_small_fp16_bf16_kernelI6__halfLi64ELi1ELi1ELi8ELi4ELi3EEEviiPKT_S4_PS2_ii,@function
_ZN5aiter32wv_splitk_small_fp16_bf16_kernelI6__halfLi64ELi1ELi1ELi8ELi4ELi3EEEviiPKT_S4_PS2_ii: ; @_ZN5aiter32wv_splitk_small_fp16_bf16_kernelI6__halfLi64ELi1ELi1ELi8ELi4ELi3EEEviiPKT_S4_PS2_ii
; %bb.0:
	s_add_u32 s8, s0, 40
	s_addc_u32 s9, s1, 0
	s_getpc_b64 s[0:1]
	s_add_u32 s0, s0, __PRETTY_FUNCTION__._ZN5aiter32wv_splitk_small_fp16_bf16_kernelI6__halfLi64ELi1ELi1ELi8ELi4ELi3EEEviiPKT_S4_PS2_ii@rel32@lo+4
	s_addc_u32 s1, s1, __PRETTY_FUNCTION__._ZN5aiter32wv_splitk_small_fp16_bf16_kernelI6__halfLi64ELi1ELi1ELi8ELi4ELi3EEEviiPKT_S4_PS2_ii@rel32@hi+12
	v_dual_mov_b32 v0, 0x2a6 :: v_dual_mov_b32 v1, s0
	v_mov_b32_e32 v2, s1
	s_mov_b32 s32, 0
	s_getpc_b64 s[2:3]
	s_add_u32 s2, s2, __assert_fail@rel32@lo+4
	s_addc_u32 s3, s3, __assert_fail@rel32@hi+12
	s_delay_alu instid0(SALU_CYCLE_1)
	s_swappc_b64 s[30:31], s[2:3]
	.section	.rodata,"a",@progbits
	.p2align	6, 0x0
	.amdhsa_kernel _ZN5aiter32wv_splitk_small_fp16_bf16_kernelI6__halfLi64ELi1ELi1ELi8ELi4ELi3EEEviiPKT_S4_PS2_ii
		.amdhsa_group_segment_fixed_size 0
		.amdhsa_private_segment_fixed_size 64
		.amdhsa_kernarg_size 296
		.amdhsa_user_sgpr_count 15
		.amdhsa_user_sgpr_dispatch_ptr 0
		.amdhsa_user_sgpr_queue_ptr 0
		.amdhsa_user_sgpr_kernarg_segment_ptr 1
		.amdhsa_user_sgpr_dispatch_id 0
		.amdhsa_user_sgpr_private_segment_size 0
		.amdhsa_wavefront_size32 1
		.amdhsa_uses_dynamic_stack 0
		.amdhsa_enable_private_segment 1
		.amdhsa_system_sgpr_workgroup_id_x 1
		.amdhsa_system_sgpr_workgroup_id_y 0
		.amdhsa_system_sgpr_workgroup_id_z 0
		.amdhsa_system_sgpr_workgroup_info 0
		.amdhsa_system_vgpr_workitem_id 0
		.amdhsa_next_free_vgpr 50
		.amdhsa_next_free_sgpr 34
		.amdhsa_reserve_vcc 1
		.amdhsa_float_round_mode_32 0
		.amdhsa_float_round_mode_16_64 0
		.amdhsa_float_denorm_mode_32 3
		.amdhsa_float_denorm_mode_16_64 3
		.amdhsa_dx10_clamp 1
		.amdhsa_ieee_mode 1
		.amdhsa_fp16_overflow 0
		.amdhsa_workgroup_processor_mode 1
		.amdhsa_memory_ordered 1
		.amdhsa_forward_progress 0
		.amdhsa_shared_vgpr_count 0
		.amdhsa_exception_fp_ieee_invalid_op 0
		.amdhsa_exception_fp_denorm_src 0
		.amdhsa_exception_fp_ieee_div_zero 0
		.amdhsa_exception_fp_ieee_overflow 0
		.amdhsa_exception_fp_ieee_underflow 0
		.amdhsa_exception_fp_ieee_inexact 0
		.amdhsa_exception_int_div_zero 0
	.end_amdhsa_kernel
	.section	.text._ZN5aiter32wv_splitk_small_fp16_bf16_kernelI6__halfLi64ELi1ELi1ELi8ELi4ELi3EEEviiPKT_S4_PS2_ii,"axG",@progbits,_ZN5aiter32wv_splitk_small_fp16_bf16_kernelI6__halfLi64ELi1ELi1ELi8ELi4ELi3EEEviiPKT_S4_PS2_ii,comdat
.Lfunc_end14:
	.size	_ZN5aiter32wv_splitk_small_fp16_bf16_kernelI6__halfLi64ELi1ELi1ELi8ELi4ELi3EEEviiPKT_S4_PS2_ii, .Lfunc_end14-_ZN5aiter32wv_splitk_small_fp16_bf16_kernelI6__halfLi64ELi1ELi1ELi8ELi4ELi3EEEviiPKT_S4_PS2_ii
                                        ; -- End function
	.section	.AMDGPU.csdata,"",@progbits
; Kernel info:
; codeLenInByte = 76
; NumSgprs: 36
; NumVgprs: 50
; ScratchSize: 64
; MemoryBound: 0
; FloatMode: 240
; IeeeMode: 1
; LDSByteSize: 0 bytes/workgroup (compile time only)
; SGPRBlocks: 4
; VGPRBlocks: 6
; NumSGPRsForWavesPerEU: 36
; NumVGPRsForWavesPerEU: 50
; Occupancy: 16
; WaveLimiterHint : 1
; COMPUTE_PGM_RSRC2:SCRATCH_EN: 1
; COMPUTE_PGM_RSRC2:USER_SGPR: 15
; COMPUTE_PGM_RSRC2:TRAP_HANDLER: 0
; COMPUTE_PGM_RSRC2:TGID_X_EN: 1
; COMPUTE_PGM_RSRC2:TGID_Y_EN: 0
; COMPUTE_PGM_RSRC2:TGID_Z_EN: 0
; COMPUTE_PGM_RSRC2:TIDIG_COMP_CNT: 0
	.section	.text._ZN5aiter32wv_splitk_small_fp16_bf16_kernelI6__halfLi64ELi1ELi1ELi8ELi4ELi4EEEviiPKT_S4_PS2_ii,"axG",@progbits,_ZN5aiter32wv_splitk_small_fp16_bf16_kernelI6__halfLi64ELi1ELi1ELi8ELi4ELi4EEEviiPKT_S4_PS2_ii,comdat
	.protected	_ZN5aiter32wv_splitk_small_fp16_bf16_kernelI6__halfLi64ELi1ELi1ELi8ELi4ELi4EEEviiPKT_S4_PS2_ii ; -- Begin function _ZN5aiter32wv_splitk_small_fp16_bf16_kernelI6__halfLi64ELi1ELi1ELi8ELi4ELi4EEEviiPKT_S4_PS2_ii
	.globl	_ZN5aiter32wv_splitk_small_fp16_bf16_kernelI6__halfLi64ELi1ELi1ELi8ELi4ELi4EEEviiPKT_S4_PS2_ii
	.p2align	8
	.type	_ZN5aiter32wv_splitk_small_fp16_bf16_kernelI6__halfLi64ELi1ELi1ELi8ELi4ELi4EEEviiPKT_S4_PS2_ii,@function
_ZN5aiter32wv_splitk_small_fp16_bf16_kernelI6__halfLi64ELi1ELi1ELi8ELi4ELi4EEEviiPKT_S4_PS2_ii: ; @_ZN5aiter32wv_splitk_small_fp16_bf16_kernelI6__halfLi64ELi1ELi1ELi8ELi4ELi4EEEviiPKT_S4_PS2_ii
; %bb.0:
	s_add_u32 s8, s0, 40
	s_addc_u32 s9, s1, 0
	s_getpc_b64 s[0:1]
	s_add_u32 s0, s0, __PRETTY_FUNCTION__._ZN5aiter32wv_splitk_small_fp16_bf16_kernelI6__halfLi64ELi1ELi1ELi8ELi4ELi4EEEviiPKT_S4_PS2_ii@rel32@lo+4
	s_addc_u32 s1, s1, __PRETTY_FUNCTION__._ZN5aiter32wv_splitk_small_fp16_bf16_kernelI6__halfLi64ELi1ELi1ELi8ELi4ELi4EEEviiPKT_S4_PS2_ii@rel32@hi+12
	v_dual_mov_b32 v0, 0x2a6 :: v_dual_mov_b32 v1, s0
	v_mov_b32_e32 v2, s1
	s_mov_b32 s32, 0
	s_getpc_b64 s[2:3]
	s_add_u32 s2, s2, __assert_fail@rel32@lo+4
	s_addc_u32 s3, s3, __assert_fail@rel32@hi+12
	s_delay_alu instid0(SALU_CYCLE_1)
	s_swappc_b64 s[30:31], s[2:3]
	.section	.rodata,"a",@progbits
	.p2align	6, 0x0
	.amdhsa_kernel _ZN5aiter32wv_splitk_small_fp16_bf16_kernelI6__halfLi64ELi1ELi1ELi8ELi4ELi4EEEviiPKT_S4_PS2_ii
		.amdhsa_group_segment_fixed_size 0
		.amdhsa_private_segment_fixed_size 64
		.amdhsa_kernarg_size 296
		.amdhsa_user_sgpr_count 15
		.amdhsa_user_sgpr_dispatch_ptr 0
		.amdhsa_user_sgpr_queue_ptr 0
		.amdhsa_user_sgpr_kernarg_segment_ptr 1
		.amdhsa_user_sgpr_dispatch_id 0
		.amdhsa_user_sgpr_private_segment_size 0
		.amdhsa_wavefront_size32 1
		.amdhsa_uses_dynamic_stack 0
		.amdhsa_enable_private_segment 1
		.amdhsa_system_sgpr_workgroup_id_x 1
		.amdhsa_system_sgpr_workgroup_id_y 0
		.amdhsa_system_sgpr_workgroup_id_z 0
		.amdhsa_system_sgpr_workgroup_info 0
		.amdhsa_system_vgpr_workitem_id 0
		.amdhsa_next_free_vgpr 50
		.amdhsa_next_free_sgpr 34
		.amdhsa_reserve_vcc 1
		.amdhsa_float_round_mode_32 0
		.amdhsa_float_round_mode_16_64 0
		.amdhsa_float_denorm_mode_32 3
		.amdhsa_float_denorm_mode_16_64 3
		.amdhsa_dx10_clamp 1
		.amdhsa_ieee_mode 1
		.amdhsa_fp16_overflow 0
		.amdhsa_workgroup_processor_mode 1
		.amdhsa_memory_ordered 1
		.amdhsa_forward_progress 0
		.amdhsa_shared_vgpr_count 0
		.amdhsa_exception_fp_ieee_invalid_op 0
		.amdhsa_exception_fp_denorm_src 0
		.amdhsa_exception_fp_ieee_div_zero 0
		.amdhsa_exception_fp_ieee_overflow 0
		.amdhsa_exception_fp_ieee_underflow 0
		.amdhsa_exception_fp_ieee_inexact 0
		.amdhsa_exception_int_div_zero 0
	.end_amdhsa_kernel
	.section	.text._ZN5aiter32wv_splitk_small_fp16_bf16_kernelI6__halfLi64ELi1ELi1ELi8ELi4ELi4EEEviiPKT_S4_PS2_ii,"axG",@progbits,_ZN5aiter32wv_splitk_small_fp16_bf16_kernelI6__halfLi64ELi1ELi1ELi8ELi4ELi4EEEviiPKT_S4_PS2_ii,comdat
.Lfunc_end15:
	.size	_ZN5aiter32wv_splitk_small_fp16_bf16_kernelI6__halfLi64ELi1ELi1ELi8ELi4ELi4EEEviiPKT_S4_PS2_ii, .Lfunc_end15-_ZN5aiter32wv_splitk_small_fp16_bf16_kernelI6__halfLi64ELi1ELi1ELi8ELi4ELi4EEEviiPKT_S4_PS2_ii
                                        ; -- End function
	.section	.AMDGPU.csdata,"",@progbits
; Kernel info:
; codeLenInByte = 76
; NumSgprs: 36
; NumVgprs: 50
; ScratchSize: 64
; MemoryBound: 0
; FloatMode: 240
; IeeeMode: 1
; LDSByteSize: 0 bytes/workgroup (compile time only)
; SGPRBlocks: 4
; VGPRBlocks: 6
; NumSGPRsForWavesPerEU: 36
; NumVGPRsForWavesPerEU: 50
; Occupancy: 16
; WaveLimiterHint : 1
; COMPUTE_PGM_RSRC2:SCRATCH_EN: 1
; COMPUTE_PGM_RSRC2:USER_SGPR: 15
; COMPUTE_PGM_RSRC2:TRAP_HANDLER: 0
; COMPUTE_PGM_RSRC2:TGID_X_EN: 1
; COMPUTE_PGM_RSRC2:TGID_Y_EN: 0
; COMPUTE_PGM_RSRC2:TGID_Z_EN: 0
; COMPUTE_PGM_RSRC2:TIDIG_COMP_CNT: 0
	.section	.text._ZN5aiter32wv_splitk_small_fp16_bf16_kernelI6__halfLi64ELi1ELi1ELi8ELi4ELi5EEEviiPKT_S4_PS2_ii,"axG",@progbits,_ZN5aiter32wv_splitk_small_fp16_bf16_kernelI6__halfLi64ELi1ELi1ELi8ELi4ELi5EEEviiPKT_S4_PS2_ii,comdat
	.protected	_ZN5aiter32wv_splitk_small_fp16_bf16_kernelI6__halfLi64ELi1ELi1ELi8ELi4ELi5EEEviiPKT_S4_PS2_ii ; -- Begin function _ZN5aiter32wv_splitk_small_fp16_bf16_kernelI6__halfLi64ELi1ELi1ELi8ELi4ELi5EEEviiPKT_S4_PS2_ii
	.globl	_ZN5aiter32wv_splitk_small_fp16_bf16_kernelI6__halfLi64ELi1ELi1ELi8ELi4ELi5EEEviiPKT_S4_PS2_ii
	.p2align	8
	.type	_ZN5aiter32wv_splitk_small_fp16_bf16_kernelI6__halfLi64ELi1ELi1ELi8ELi4ELi5EEEviiPKT_S4_PS2_ii,@function
_ZN5aiter32wv_splitk_small_fp16_bf16_kernelI6__halfLi64ELi1ELi1ELi8ELi4ELi5EEEviiPKT_S4_PS2_ii: ; @_ZN5aiter32wv_splitk_small_fp16_bf16_kernelI6__halfLi64ELi1ELi1ELi8ELi4ELi5EEEviiPKT_S4_PS2_ii
; %bb.0:
	s_add_u32 s8, s0, 40
	s_addc_u32 s9, s1, 0
	s_getpc_b64 s[0:1]
	s_add_u32 s0, s0, __PRETTY_FUNCTION__._ZN5aiter32wv_splitk_small_fp16_bf16_kernelI6__halfLi64ELi1ELi1ELi8ELi4ELi5EEEviiPKT_S4_PS2_ii@rel32@lo+4
	s_addc_u32 s1, s1, __PRETTY_FUNCTION__._ZN5aiter32wv_splitk_small_fp16_bf16_kernelI6__halfLi64ELi1ELi1ELi8ELi4ELi5EEEviiPKT_S4_PS2_ii@rel32@hi+12
	v_dual_mov_b32 v0, 0x2a6 :: v_dual_mov_b32 v1, s0
	v_mov_b32_e32 v2, s1
	s_mov_b32 s32, 0
	s_getpc_b64 s[2:3]
	s_add_u32 s2, s2, __assert_fail@rel32@lo+4
	s_addc_u32 s3, s3, __assert_fail@rel32@hi+12
	s_delay_alu instid0(SALU_CYCLE_1)
	s_swappc_b64 s[30:31], s[2:3]
	.section	.rodata,"a",@progbits
	.p2align	6, 0x0
	.amdhsa_kernel _ZN5aiter32wv_splitk_small_fp16_bf16_kernelI6__halfLi64ELi1ELi1ELi8ELi4ELi5EEEviiPKT_S4_PS2_ii
		.amdhsa_group_segment_fixed_size 0
		.amdhsa_private_segment_fixed_size 64
		.amdhsa_kernarg_size 296
		.amdhsa_user_sgpr_count 15
		.amdhsa_user_sgpr_dispatch_ptr 0
		.amdhsa_user_sgpr_queue_ptr 0
		.amdhsa_user_sgpr_kernarg_segment_ptr 1
		.amdhsa_user_sgpr_dispatch_id 0
		.amdhsa_user_sgpr_private_segment_size 0
		.amdhsa_wavefront_size32 1
		.amdhsa_uses_dynamic_stack 0
		.amdhsa_enable_private_segment 1
		.amdhsa_system_sgpr_workgroup_id_x 1
		.amdhsa_system_sgpr_workgroup_id_y 0
		.amdhsa_system_sgpr_workgroup_id_z 0
		.amdhsa_system_sgpr_workgroup_info 0
		.amdhsa_system_vgpr_workitem_id 0
		.amdhsa_next_free_vgpr 50
		.amdhsa_next_free_sgpr 34
		.amdhsa_reserve_vcc 1
		.amdhsa_float_round_mode_32 0
		.amdhsa_float_round_mode_16_64 0
		.amdhsa_float_denorm_mode_32 3
		.amdhsa_float_denorm_mode_16_64 3
		.amdhsa_dx10_clamp 1
		.amdhsa_ieee_mode 1
		.amdhsa_fp16_overflow 0
		.amdhsa_workgroup_processor_mode 1
		.amdhsa_memory_ordered 1
		.amdhsa_forward_progress 0
		.amdhsa_shared_vgpr_count 0
		.amdhsa_exception_fp_ieee_invalid_op 0
		.amdhsa_exception_fp_denorm_src 0
		.amdhsa_exception_fp_ieee_div_zero 0
		.amdhsa_exception_fp_ieee_overflow 0
		.amdhsa_exception_fp_ieee_underflow 0
		.amdhsa_exception_fp_ieee_inexact 0
		.amdhsa_exception_int_div_zero 0
	.end_amdhsa_kernel
	.section	.text._ZN5aiter32wv_splitk_small_fp16_bf16_kernelI6__halfLi64ELi1ELi1ELi8ELi4ELi5EEEviiPKT_S4_PS2_ii,"axG",@progbits,_ZN5aiter32wv_splitk_small_fp16_bf16_kernelI6__halfLi64ELi1ELi1ELi8ELi4ELi5EEEviiPKT_S4_PS2_ii,comdat
.Lfunc_end16:
	.size	_ZN5aiter32wv_splitk_small_fp16_bf16_kernelI6__halfLi64ELi1ELi1ELi8ELi4ELi5EEEviiPKT_S4_PS2_ii, .Lfunc_end16-_ZN5aiter32wv_splitk_small_fp16_bf16_kernelI6__halfLi64ELi1ELi1ELi8ELi4ELi5EEEviiPKT_S4_PS2_ii
                                        ; -- End function
	.section	.AMDGPU.csdata,"",@progbits
; Kernel info:
; codeLenInByte = 76
; NumSgprs: 36
; NumVgprs: 50
; ScratchSize: 64
; MemoryBound: 0
; FloatMode: 240
; IeeeMode: 1
; LDSByteSize: 0 bytes/workgroup (compile time only)
; SGPRBlocks: 4
; VGPRBlocks: 6
; NumSGPRsForWavesPerEU: 36
; NumVGPRsForWavesPerEU: 50
; Occupancy: 16
; WaveLimiterHint : 1
; COMPUTE_PGM_RSRC2:SCRATCH_EN: 1
; COMPUTE_PGM_RSRC2:USER_SGPR: 15
; COMPUTE_PGM_RSRC2:TRAP_HANDLER: 0
; COMPUTE_PGM_RSRC2:TGID_X_EN: 1
; COMPUTE_PGM_RSRC2:TGID_Y_EN: 0
; COMPUTE_PGM_RSRC2:TGID_Z_EN: 0
; COMPUTE_PGM_RSRC2:TIDIG_COMP_CNT: 0
	.section	.text._ZN5aiter32wv_splitk_small_fp16_bf16_kernelI6__halfLi64ELi1ELi1ELi8ELi4ELi6EEEviiPKT_S4_PS2_ii,"axG",@progbits,_ZN5aiter32wv_splitk_small_fp16_bf16_kernelI6__halfLi64ELi1ELi1ELi8ELi4ELi6EEEviiPKT_S4_PS2_ii,comdat
	.protected	_ZN5aiter32wv_splitk_small_fp16_bf16_kernelI6__halfLi64ELi1ELi1ELi8ELi4ELi6EEEviiPKT_S4_PS2_ii ; -- Begin function _ZN5aiter32wv_splitk_small_fp16_bf16_kernelI6__halfLi64ELi1ELi1ELi8ELi4ELi6EEEviiPKT_S4_PS2_ii
	.globl	_ZN5aiter32wv_splitk_small_fp16_bf16_kernelI6__halfLi64ELi1ELi1ELi8ELi4ELi6EEEviiPKT_S4_PS2_ii
	.p2align	8
	.type	_ZN5aiter32wv_splitk_small_fp16_bf16_kernelI6__halfLi64ELi1ELi1ELi8ELi4ELi6EEEviiPKT_S4_PS2_ii,@function
_ZN5aiter32wv_splitk_small_fp16_bf16_kernelI6__halfLi64ELi1ELi1ELi8ELi4ELi6EEEviiPKT_S4_PS2_ii: ; @_ZN5aiter32wv_splitk_small_fp16_bf16_kernelI6__halfLi64ELi1ELi1ELi8ELi4ELi6EEEviiPKT_S4_PS2_ii
; %bb.0:
	s_add_u32 s8, s0, 40
	s_addc_u32 s9, s1, 0
	s_getpc_b64 s[0:1]
	s_add_u32 s0, s0, __PRETTY_FUNCTION__._ZN5aiter32wv_splitk_small_fp16_bf16_kernelI6__halfLi64ELi1ELi1ELi8ELi4ELi6EEEviiPKT_S4_PS2_ii@rel32@lo+4
	s_addc_u32 s1, s1, __PRETTY_FUNCTION__._ZN5aiter32wv_splitk_small_fp16_bf16_kernelI6__halfLi64ELi1ELi1ELi8ELi4ELi6EEEviiPKT_S4_PS2_ii@rel32@hi+12
	v_dual_mov_b32 v0, 0x2a6 :: v_dual_mov_b32 v1, s0
	v_mov_b32_e32 v2, s1
	s_mov_b32 s32, 0
	s_getpc_b64 s[2:3]
	s_add_u32 s2, s2, __assert_fail@rel32@lo+4
	s_addc_u32 s3, s3, __assert_fail@rel32@hi+12
	s_delay_alu instid0(SALU_CYCLE_1)
	s_swappc_b64 s[30:31], s[2:3]
	.section	.rodata,"a",@progbits
	.p2align	6, 0x0
	.amdhsa_kernel _ZN5aiter32wv_splitk_small_fp16_bf16_kernelI6__halfLi64ELi1ELi1ELi8ELi4ELi6EEEviiPKT_S4_PS2_ii
		.amdhsa_group_segment_fixed_size 0
		.amdhsa_private_segment_fixed_size 64
		.amdhsa_kernarg_size 296
		.amdhsa_user_sgpr_count 15
		.amdhsa_user_sgpr_dispatch_ptr 0
		.amdhsa_user_sgpr_queue_ptr 0
		.amdhsa_user_sgpr_kernarg_segment_ptr 1
		.amdhsa_user_sgpr_dispatch_id 0
		.amdhsa_user_sgpr_private_segment_size 0
		.amdhsa_wavefront_size32 1
		.amdhsa_uses_dynamic_stack 0
		.amdhsa_enable_private_segment 1
		.amdhsa_system_sgpr_workgroup_id_x 1
		.amdhsa_system_sgpr_workgroup_id_y 0
		.amdhsa_system_sgpr_workgroup_id_z 0
		.amdhsa_system_sgpr_workgroup_info 0
		.amdhsa_system_vgpr_workitem_id 0
		.amdhsa_next_free_vgpr 50
		.amdhsa_next_free_sgpr 34
		.amdhsa_reserve_vcc 1
		.amdhsa_float_round_mode_32 0
		.amdhsa_float_round_mode_16_64 0
		.amdhsa_float_denorm_mode_32 3
		.amdhsa_float_denorm_mode_16_64 3
		.amdhsa_dx10_clamp 1
		.amdhsa_ieee_mode 1
		.amdhsa_fp16_overflow 0
		.amdhsa_workgroup_processor_mode 1
		.amdhsa_memory_ordered 1
		.amdhsa_forward_progress 0
		.amdhsa_shared_vgpr_count 0
		.amdhsa_exception_fp_ieee_invalid_op 0
		.amdhsa_exception_fp_denorm_src 0
		.amdhsa_exception_fp_ieee_div_zero 0
		.amdhsa_exception_fp_ieee_overflow 0
		.amdhsa_exception_fp_ieee_underflow 0
		.amdhsa_exception_fp_ieee_inexact 0
		.amdhsa_exception_int_div_zero 0
	.end_amdhsa_kernel
	.section	.text._ZN5aiter32wv_splitk_small_fp16_bf16_kernelI6__halfLi64ELi1ELi1ELi8ELi4ELi6EEEviiPKT_S4_PS2_ii,"axG",@progbits,_ZN5aiter32wv_splitk_small_fp16_bf16_kernelI6__halfLi64ELi1ELi1ELi8ELi4ELi6EEEviiPKT_S4_PS2_ii,comdat
.Lfunc_end17:
	.size	_ZN5aiter32wv_splitk_small_fp16_bf16_kernelI6__halfLi64ELi1ELi1ELi8ELi4ELi6EEEviiPKT_S4_PS2_ii, .Lfunc_end17-_ZN5aiter32wv_splitk_small_fp16_bf16_kernelI6__halfLi64ELi1ELi1ELi8ELi4ELi6EEEviiPKT_S4_PS2_ii
                                        ; -- End function
	.section	.AMDGPU.csdata,"",@progbits
; Kernel info:
; codeLenInByte = 76
; NumSgprs: 36
; NumVgprs: 50
; ScratchSize: 64
; MemoryBound: 0
; FloatMode: 240
; IeeeMode: 1
; LDSByteSize: 0 bytes/workgroup (compile time only)
; SGPRBlocks: 4
; VGPRBlocks: 6
; NumSGPRsForWavesPerEU: 36
; NumVGPRsForWavesPerEU: 50
; Occupancy: 16
; WaveLimiterHint : 1
; COMPUTE_PGM_RSRC2:SCRATCH_EN: 1
; COMPUTE_PGM_RSRC2:USER_SGPR: 15
; COMPUTE_PGM_RSRC2:TRAP_HANDLER: 0
; COMPUTE_PGM_RSRC2:TGID_X_EN: 1
; COMPUTE_PGM_RSRC2:TGID_Y_EN: 0
; COMPUTE_PGM_RSRC2:TGID_Z_EN: 0
; COMPUTE_PGM_RSRC2:TIDIG_COMP_CNT: 0
	.section	.text._ZN5aiter32wv_splitk_small_fp16_bf16_kernelI6__halfLi64ELi1ELi1ELi8ELi4ELi7EEEviiPKT_S4_PS2_ii,"axG",@progbits,_ZN5aiter32wv_splitk_small_fp16_bf16_kernelI6__halfLi64ELi1ELi1ELi8ELi4ELi7EEEviiPKT_S4_PS2_ii,comdat
	.protected	_ZN5aiter32wv_splitk_small_fp16_bf16_kernelI6__halfLi64ELi1ELi1ELi8ELi4ELi7EEEviiPKT_S4_PS2_ii ; -- Begin function _ZN5aiter32wv_splitk_small_fp16_bf16_kernelI6__halfLi64ELi1ELi1ELi8ELi4ELi7EEEviiPKT_S4_PS2_ii
	.globl	_ZN5aiter32wv_splitk_small_fp16_bf16_kernelI6__halfLi64ELi1ELi1ELi8ELi4ELi7EEEviiPKT_S4_PS2_ii
	.p2align	8
	.type	_ZN5aiter32wv_splitk_small_fp16_bf16_kernelI6__halfLi64ELi1ELi1ELi8ELi4ELi7EEEviiPKT_S4_PS2_ii,@function
_ZN5aiter32wv_splitk_small_fp16_bf16_kernelI6__halfLi64ELi1ELi1ELi8ELi4ELi7EEEviiPKT_S4_PS2_ii: ; @_ZN5aiter32wv_splitk_small_fp16_bf16_kernelI6__halfLi64ELi1ELi1ELi8ELi4ELi7EEEviiPKT_S4_PS2_ii
; %bb.0:
	s_add_u32 s8, s0, 40
	s_addc_u32 s9, s1, 0
	s_getpc_b64 s[0:1]
	s_add_u32 s0, s0, __PRETTY_FUNCTION__._ZN5aiter32wv_splitk_small_fp16_bf16_kernelI6__halfLi64ELi1ELi1ELi8ELi4ELi7EEEviiPKT_S4_PS2_ii@rel32@lo+4
	s_addc_u32 s1, s1, __PRETTY_FUNCTION__._ZN5aiter32wv_splitk_small_fp16_bf16_kernelI6__halfLi64ELi1ELi1ELi8ELi4ELi7EEEviiPKT_S4_PS2_ii@rel32@hi+12
	v_dual_mov_b32 v0, 0x2a6 :: v_dual_mov_b32 v1, s0
	v_mov_b32_e32 v2, s1
	s_mov_b32 s32, 0
	s_getpc_b64 s[2:3]
	s_add_u32 s2, s2, __assert_fail@rel32@lo+4
	s_addc_u32 s3, s3, __assert_fail@rel32@hi+12
	s_delay_alu instid0(SALU_CYCLE_1)
	s_swappc_b64 s[30:31], s[2:3]
	.section	.rodata,"a",@progbits
	.p2align	6, 0x0
	.amdhsa_kernel _ZN5aiter32wv_splitk_small_fp16_bf16_kernelI6__halfLi64ELi1ELi1ELi8ELi4ELi7EEEviiPKT_S4_PS2_ii
		.amdhsa_group_segment_fixed_size 0
		.amdhsa_private_segment_fixed_size 64
		.amdhsa_kernarg_size 296
		.amdhsa_user_sgpr_count 15
		.amdhsa_user_sgpr_dispatch_ptr 0
		.amdhsa_user_sgpr_queue_ptr 0
		.amdhsa_user_sgpr_kernarg_segment_ptr 1
		.amdhsa_user_sgpr_dispatch_id 0
		.amdhsa_user_sgpr_private_segment_size 0
		.amdhsa_wavefront_size32 1
		.amdhsa_uses_dynamic_stack 0
		.amdhsa_enable_private_segment 1
		.amdhsa_system_sgpr_workgroup_id_x 1
		.amdhsa_system_sgpr_workgroup_id_y 0
		.amdhsa_system_sgpr_workgroup_id_z 0
		.amdhsa_system_sgpr_workgroup_info 0
		.amdhsa_system_vgpr_workitem_id 0
		.amdhsa_next_free_vgpr 50
		.amdhsa_next_free_sgpr 34
		.amdhsa_reserve_vcc 1
		.amdhsa_float_round_mode_32 0
		.amdhsa_float_round_mode_16_64 0
		.amdhsa_float_denorm_mode_32 3
		.amdhsa_float_denorm_mode_16_64 3
		.amdhsa_dx10_clamp 1
		.amdhsa_ieee_mode 1
		.amdhsa_fp16_overflow 0
		.amdhsa_workgroup_processor_mode 1
		.amdhsa_memory_ordered 1
		.amdhsa_forward_progress 0
		.amdhsa_shared_vgpr_count 0
		.amdhsa_exception_fp_ieee_invalid_op 0
		.amdhsa_exception_fp_denorm_src 0
		.amdhsa_exception_fp_ieee_div_zero 0
		.amdhsa_exception_fp_ieee_overflow 0
		.amdhsa_exception_fp_ieee_underflow 0
		.amdhsa_exception_fp_ieee_inexact 0
		.amdhsa_exception_int_div_zero 0
	.end_amdhsa_kernel
	.section	.text._ZN5aiter32wv_splitk_small_fp16_bf16_kernelI6__halfLi64ELi1ELi1ELi8ELi4ELi7EEEviiPKT_S4_PS2_ii,"axG",@progbits,_ZN5aiter32wv_splitk_small_fp16_bf16_kernelI6__halfLi64ELi1ELi1ELi8ELi4ELi7EEEviiPKT_S4_PS2_ii,comdat
.Lfunc_end18:
	.size	_ZN5aiter32wv_splitk_small_fp16_bf16_kernelI6__halfLi64ELi1ELi1ELi8ELi4ELi7EEEviiPKT_S4_PS2_ii, .Lfunc_end18-_ZN5aiter32wv_splitk_small_fp16_bf16_kernelI6__halfLi64ELi1ELi1ELi8ELi4ELi7EEEviiPKT_S4_PS2_ii
                                        ; -- End function
	.section	.AMDGPU.csdata,"",@progbits
; Kernel info:
; codeLenInByte = 76
; NumSgprs: 36
; NumVgprs: 50
; ScratchSize: 64
; MemoryBound: 0
; FloatMode: 240
; IeeeMode: 1
; LDSByteSize: 0 bytes/workgroup (compile time only)
; SGPRBlocks: 4
; VGPRBlocks: 6
; NumSGPRsForWavesPerEU: 36
; NumVGPRsForWavesPerEU: 50
; Occupancy: 16
; WaveLimiterHint : 1
; COMPUTE_PGM_RSRC2:SCRATCH_EN: 1
; COMPUTE_PGM_RSRC2:USER_SGPR: 15
; COMPUTE_PGM_RSRC2:TRAP_HANDLER: 0
; COMPUTE_PGM_RSRC2:TGID_X_EN: 1
; COMPUTE_PGM_RSRC2:TGID_Y_EN: 0
; COMPUTE_PGM_RSRC2:TGID_Z_EN: 0
; COMPUTE_PGM_RSRC2:TIDIG_COMP_CNT: 0
	.section	.text._ZN5aiter32wv_splitk_small_fp16_bf16_kernelI6__halfLi64ELi1ELi1ELi8ELi4ELi8EEEviiPKT_S4_PS2_ii,"axG",@progbits,_ZN5aiter32wv_splitk_small_fp16_bf16_kernelI6__halfLi64ELi1ELi1ELi8ELi4ELi8EEEviiPKT_S4_PS2_ii,comdat
	.protected	_ZN5aiter32wv_splitk_small_fp16_bf16_kernelI6__halfLi64ELi1ELi1ELi8ELi4ELi8EEEviiPKT_S4_PS2_ii ; -- Begin function _ZN5aiter32wv_splitk_small_fp16_bf16_kernelI6__halfLi64ELi1ELi1ELi8ELi4ELi8EEEviiPKT_S4_PS2_ii
	.globl	_ZN5aiter32wv_splitk_small_fp16_bf16_kernelI6__halfLi64ELi1ELi1ELi8ELi4ELi8EEEviiPKT_S4_PS2_ii
	.p2align	8
	.type	_ZN5aiter32wv_splitk_small_fp16_bf16_kernelI6__halfLi64ELi1ELi1ELi8ELi4ELi8EEEviiPKT_S4_PS2_ii,@function
_ZN5aiter32wv_splitk_small_fp16_bf16_kernelI6__halfLi64ELi1ELi1ELi8ELi4ELi8EEEviiPKT_S4_PS2_ii: ; @_ZN5aiter32wv_splitk_small_fp16_bf16_kernelI6__halfLi64ELi1ELi1ELi8ELi4ELi8EEEviiPKT_S4_PS2_ii
; %bb.0:
	s_add_u32 s8, s0, 40
	s_addc_u32 s9, s1, 0
	s_getpc_b64 s[0:1]
	s_add_u32 s0, s0, __PRETTY_FUNCTION__._ZN5aiter32wv_splitk_small_fp16_bf16_kernelI6__halfLi64ELi1ELi1ELi8ELi4ELi8EEEviiPKT_S4_PS2_ii@rel32@lo+4
	s_addc_u32 s1, s1, __PRETTY_FUNCTION__._ZN5aiter32wv_splitk_small_fp16_bf16_kernelI6__halfLi64ELi1ELi1ELi8ELi4ELi8EEEviiPKT_S4_PS2_ii@rel32@hi+12
	v_dual_mov_b32 v0, 0x2a6 :: v_dual_mov_b32 v1, s0
	v_mov_b32_e32 v2, s1
	s_mov_b32 s32, 0
	s_getpc_b64 s[2:3]
	s_add_u32 s2, s2, __assert_fail@rel32@lo+4
	s_addc_u32 s3, s3, __assert_fail@rel32@hi+12
	s_delay_alu instid0(SALU_CYCLE_1)
	s_swappc_b64 s[30:31], s[2:3]
	.section	.rodata,"a",@progbits
	.p2align	6, 0x0
	.amdhsa_kernel _ZN5aiter32wv_splitk_small_fp16_bf16_kernelI6__halfLi64ELi1ELi1ELi8ELi4ELi8EEEviiPKT_S4_PS2_ii
		.amdhsa_group_segment_fixed_size 0
		.amdhsa_private_segment_fixed_size 64
		.amdhsa_kernarg_size 296
		.amdhsa_user_sgpr_count 15
		.amdhsa_user_sgpr_dispatch_ptr 0
		.amdhsa_user_sgpr_queue_ptr 0
		.amdhsa_user_sgpr_kernarg_segment_ptr 1
		.amdhsa_user_sgpr_dispatch_id 0
		.amdhsa_user_sgpr_private_segment_size 0
		.amdhsa_wavefront_size32 1
		.amdhsa_uses_dynamic_stack 0
		.amdhsa_enable_private_segment 1
		.amdhsa_system_sgpr_workgroup_id_x 1
		.amdhsa_system_sgpr_workgroup_id_y 0
		.amdhsa_system_sgpr_workgroup_id_z 0
		.amdhsa_system_sgpr_workgroup_info 0
		.amdhsa_system_vgpr_workitem_id 0
		.amdhsa_next_free_vgpr 50
		.amdhsa_next_free_sgpr 34
		.amdhsa_reserve_vcc 1
		.amdhsa_float_round_mode_32 0
		.amdhsa_float_round_mode_16_64 0
		.amdhsa_float_denorm_mode_32 3
		.amdhsa_float_denorm_mode_16_64 3
		.amdhsa_dx10_clamp 1
		.amdhsa_ieee_mode 1
		.amdhsa_fp16_overflow 0
		.amdhsa_workgroup_processor_mode 1
		.amdhsa_memory_ordered 1
		.amdhsa_forward_progress 0
		.amdhsa_shared_vgpr_count 0
		.amdhsa_exception_fp_ieee_invalid_op 0
		.amdhsa_exception_fp_denorm_src 0
		.amdhsa_exception_fp_ieee_div_zero 0
		.amdhsa_exception_fp_ieee_overflow 0
		.amdhsa_exception_fp_ieee_underflow 0
		.amdhsa_exception_fp_ieee_inexact 0
		.amdhsa_exception_int_div_zero 0
	.end_amdhsa_kernel
	.section	.text._ZN5aiter32wv_splitk_small_fp16_bf16_kernelI6__halfLi64ELi1ELi1ELi8ELi4ELi8EEEviiPKT_S4_PS2_ii,"axG",@progbits,_ZN5aiter32wv_splitk_small_fp16_bf16_kernelI6__halfLi64ELi1ELi1ELi8ELi4ELi8EEEviiPKT_S4_PS2_ii,comdat
.Lfunc_end19:
	.size	_ZN5aiter32wv_splitk_small_fp16_bf16_kernelI6__halfLi64ELi1ELi1ELi8ELi4ELi8EEEviiPKT_S4_PS2_ii, .Lfunc_end19-_ZN5aiter32wv_splitk_small_fp16_bf16_kernelI6__halfLi64ELi1ELi1ELi8ELi4ELi8EEEviiPKT_S4_PS2_ii
                                        ; -- End function
	.section	.AMDGPU.csdata,"",@progbits
; Kernel info:
; codeLenInByte = 76
; NumSgprs: 36
; NumVgprs: 50
; ScratchSize: 64
; MemoryBound: 0
; FloatMode: 240
; IeeeMode: 1
; LDSByteSize: 0 bytes/workgroup (compile time only)
; SGPRBlocks: 4
; VGPRBlocks: 6
; NumSGPRsForWavesPerEU: 36
; NumVGPRsForWavesPerEU: 50
; Occupancy: 16
; WaveLimiterHint : 1
; COMPUTE_PGM_RSRC2:SCRATCH_EN: 1
; COMPUTE_PGM_RSRC2:USER_SGPR: 15
; COMPUTE_PGM_RSRC2:TRAP_HANDLER: 0
; COMPUTE_PGM_RSRC2:TGID_X_EN: 1
; COMPUTE_PGM_RSRC2:TGID_Y_EN: 0
; COMPUTE_PGM_RSRC2:TGID_Z_EN: 0
; COMPUTE_PGM_RSRC2:TIDIG_COMP_CNT: 0
	.section	.text._ZN5aiter32wv_splitk_small_fp16_bf16_kernelI6__halfLi64ELi1ELi1ELi8ELi4ELi9EEEviiPKT_S4_PS2_ii,"axG",@progbits,_ZN5aiter32wv_splitk_small_fp16_bf16_kernelI6__halfLi64ELi1ELi1ELi8ELi4ELi9EEEviiPKT_S4_PS2_ii,comdat
	.protected	_ZN5aiter32wv_splitk_small_fp16_bf16_kernelI6__halfLi64ELi1ELi1ELi8ELi4ELi9EEEviiPKT_S4_PS2_ii ; -- Begin function _ZN5aiter32wv_splitk_small_fp16_bf16_kernelI6__halfLi64ELi1ELi1ELi8ELi4ELi9EEEviiPKT_S4_PS2_ii
	.globl	_ZN5aiter32wv_splitk_small_fp16_bf16_kernelI6__halfLi64ELi1ELi1ELi8ELi4ELi9EEEviiPKT_S4_PS2_ii
	.p2align	8
	.type	_ZN5aiter32wv_splitk_small_fp16_bf16_kernelI6__halfLi64ELi1ELi1ELi8ELi4ELi9EEEviiPKT_S4_PS2_ii,@function
_ZN5aiter32wv_splitk_small_fp16_bf16_kernelI6__halfLi64ELi1ELi1ELi8ELi4ELi9EEEviiPKT_S4_PS2_ii: ; @_ZN5aiter32wv_splitk_small_fp16_bf16_kernelI6__halfLi64ELi1ELi1ELi8ELi4ELi9EEEviiPKT_S4_PS2_ii
; %bb.0:
	s_add_u32 s8, s0, 40
	s_addc_u32 s9, s1, 0
	s_getpc_b64 s[0:1]
	s_add_u32 s0, s0, __PRETTY_FUNCTION__._ZN5aiter32wv_splitk_small_fp16_bf16_kernelI6__halfLi64ELi1ELi1ELi8ELi4ELi9EEEviiPKT_S4_PS2_ii@rel32@lo+4
	s_addc_u32 s1, s1, __PRETTY_FUNCTION__._ZN5aiter32wv_splitk_small_fp16_bf16_kernelI6__halfLi64ELi1ELi1ELi8ELi4ELi9EEEviiPKT_S4_PS2_ii@rel32@hi+12
	v_dual_mov_b32 v0, 0x2a6 :: v_dual_mov_b32 v1, s0
	v_mov_b32_e32 v2, s1
	s_mov_b32 s32, 0
	s_getpc_b64 s[2:3]
	s_add_u32 s2, s2, __assert_fail@rel32@lo+4
	s_addc_u32 s3, s3, __assert_fail@rel32@hi+12
	s_delay_alu instid0(SALU_CYCLE_1)
	s_swappc_b64 s[30:31], s[2:3]
	.section	.rodata,"a",@progbits
	.p2align	6, 0x0
	.amdhsa_kernel _ZN5aiter32wv_splitk_small_fp16_bf16_kernelI6__halfLi64ELi1ELi1ELi8ELi4ELi9EEEviiPKT_S4_PS2_ii
		.amdhsa_group_segment_fixed_size 0
		.amdhsa_private_segment_fixed_size 64
		.amdhsa_kernarg_size 296
		.amdhsa_user_sgpr_count 15
		.amdhsa_user_sgpr_dispatch_ptr 0
		.amdhsa_user_sgpr_queue_ptr 0
		.amdhsa_user_sgpr_kernarg_segment_ptr 1
		.amdhsa_user_sgpr_dispatch_id 0
		.amdhsa_user_sgpr_private_segment_size 0
		.amdhsa_wavefront_size32 1
		.amdhsa_uses_dynamic_stack 0
		.amdhsa_enable_private_segment 1
		.amdhsa_system_sgpr_workgroup_id_x 1
		.amdhsa_system_sgpr_workgroup_id_y 0
		.amdhsa_system_sgpr_workgroup_id_z 0
		.amdhsa_system_sgpr_workgroup_info 0
		.amdhsa_system_vgpr_workitem_id 0
		.amdhsa_next_free_vgpr 50
		.amdhsa_next_free_sgpr 34
		.amdhsa_reserve_vcc 1
		.amdhsa_float_round_mode_32 0
		.amdhsa_float_round_mode_16_64 0
		.amdhsa_float_denorm_mode_32 3
		.amdhsa_float_denorm_mode_16_64 3
		.amdhsa_dx10_clamp 1
		.amdhsa_ieee_mode 1
		.amdhsa_fp16_overflow 0
		.amdhsa_workgroup_processor_mode 1
		.amdhsa_memory_ordered 1
		.amdhsa_forward_progress 0
		.amdhsa_shared_vgpr_count 0
		.amdhsa_exception_fp_ieee_invalid_op 0
		.amdhsa_exception_fp_denorm_src 0
		.amdhsa_exception_fp_ieee_div_zero 0
		.amdhsa_exception_fp_ieee_overflow 0
		.amdhsa_exception_fp_ieee_underflow 0
		.amdhsa_exception_fp_ieee_inexact 0
		.amdhsa_exception_int_div_zero 0
	.end_amdhsa_kernel
	.section	.text._ZN5aiter32wv_splitk_small_fp16_bf16_kernelI6__halfLi64ELi1ELi1ELi8ELi4ELi9EEEviiPKT_S4_PS2_ii,"axG",@progbits,_ZN5aiter32wv_splitk_small_fp16_bf16_kernelI6__halfLi64ELi1ELi1ELi8ELi4ELi9EEEviiPKT_S4_PS2_ii,comdat
.Lfunc_end20:
	.size	_ZN5aiter32wv_splitk_small_fp16_bf16_kernelI6__halfLi64ELi1ELi1ELi8ELi4ELi9EEEviiPKT_S4_PS2_ii, .Lfunc_end20-_ZN5aiter32wv_splitk_small_fp16_bf16_kernelI6__halfLi64ELi1ELi1ELi8ELi4ELi9EEEviiPKT_S4_PS2_ii
                                        ; -- End function
	.section	.AMDGPU.csdata,"",@progbits
; Kernel info:
; codeLenInByte = 76
; NumSgprs: 36
; NumVgprs: 50
; ScratchSize: 64
; MemoryBound: 0
; FloatMode: 240
; IeeeMode: 1
; LDSByteSize: 0 bytes/workgroup (compile time only)
; SGPRBlocks: 4
; VGPRBlocks: 6
; NumSGPRsForWavesPerEU: 36
; NumVGPRsForWavesPerEU: 50
; Occupancy: 16
; WaveLimiterHint : 1
; COMPUTE_PGM_RSRC2:SCRATCH_EN: 1
; COMPUTE_PGM_RSRC2:USER_SGPR: 15
; COMPUTE_PGM_RSRC2:TRAP_HANDLER: 0
; COMPUTE_PGM_RSRC2:TGID_X_EN: 1
; COMPUTE_PGM_RSRC2:TGID_Y_EN: 0
; COMPUTE_PGM_RSRC2:TGID_Z_EN: 0
; COMPUTE_PGM_RSRC2:TIDIG_COMP_CNT: 0
	.section	.text._ZN5aiter32wv_splitk_small_fp16_bf16_kernelI6__halfLi64ELi1ELi1ELi8ELi4ELi10EEEviiPKT_S4_PS2_ii,"axG",@progbits,_ZN5aiter32wv_splitk_small_fp16_bf16_kernelI6__halfLi64ELi1ELi1ELi8ELi4ELi10EEEviiPKT_S4_PS2_ii,comdat
	.protected	_ZN5aiter32wv_splitk_small_fp16_bf16_kernelI6__halfLi64ELi1ELi1ELi8ELi4ELi10EEEviiPKT_S4_PS2_ii ; -- Begin function _ZN5aiter32wv_splitk_small_fp16_bf16_kernelI6__halfLi64ELi1ELi1ELi8ELi4ELi10EEEviiPKT_S4_PS2_ii
	.globl	_ZN5aiter32wv_splitk_small_fp16_bf16_kernelI6__halfLi64ELi1ELi1ELi8ELi4ELi10EEEviiPKT_S4_PS2_ii
	.p2align	8
	.type	_ZN5aiter32wv_splitk_small_fp16_bf16_kernelI6__halfLi64ELi1ELi1ELi8ELi4ELi10EEEviiPKT_S4_PS2_ii,@function
_ZN5aiter32wv_splitk_small_fp16_bf16_kernelI6__halfLi64ELi1ELi1ELi8ELi4ELi10EEEviiPKT_S4_PS2_ii: ; @_ZN5aiter32wv_splitk_small_fp16_bf16_kernelI6__halfLi64ELi1ELi1ELi8ELi4ELi10EEEviiPKT_S4_PS2_ii
; %bb.0:
	s_add_u32 s8, s0, 40
	s_addc_u32 s9, s1, 0
	s_getpc_b64 s[0:1]
	s_add_u32 s0, s0, __PRETTY_FUNCTION__._ZN5aiter32wv_splitk_small_fp16_bf16_kernelI6__halfLi64ELi1ELi1ELi8ELi4ELi10EEEviiPKT_S4_PS2_ii@rel32@lo+4
	s_addc_u32 s1, s1, __PRETTY_FUNCTION__._ZN5aiter32wv_splitk_small_fp16_bf16_kernelI6__halfLi64ELi1ELi1ELi8ELi4ELi10EEEviiPKT_S4_PS2_ii@rel32@hi+12
	v_dual_mov_b32 v0, 0x2a6 :: v_dual_mov_b32 v1, s0
	v_mov_b32_e32 v2, s1
	s_mov_b32 s32, 0
	s_getpc_b64 s[2:3]
	s_add_u32 s2, s2, __assert_fail@rel32@lo+4
	s_addc_u32 s3, s3, __assert_fail@rel32@hi+12
	s_delay_alu instid0(SALU_CYCLE_1)
	s_swappc_b64 s[30:31], s[2:3]
	.section	.rodata,"a",@progbits
	.p2align	6, 0x0
	.amdhsa_kernel _ZN5aiter32wv_splitk_small_fp16_bf16_kernelI6__halfLi64ELi1ELi1ELi8ELi4ELi10EEEviiPKT_S4_PS2_ii
		.amdhsa_group_segment_fixed_size 0
		.amdhsa_private_segment_fixed_size 64
		.amdhsa_kernarg_size 296
		.amdhsa_user_sgpr_count 15
		.amdhsa_user_sgpr_dispatch_ptr 0
		.amdhsa_user_sgpr_queue_ptr 0
		.amdhsa_user_sgpr_kernarg_segment_ptr 1
		.amdhsa_user_sgpr_dispatch_id 0
		.amdhsa_user_sgpr_private_segment_size 0
		.amdhsa_wavefront_size32 1
		.amdhsa_uses_dynamic_stack 0
		.amdhsa_enable_private_segment 1
		.amdhsa_system_sgpr_workgroup_id_x 1
		.amdhsa_system_sgpr_workgroup_id_y 0
		.amdhsa_system_sgpr_workgroup_id_z 0
		.amdhsa_system_sgpr_workgroup_info 0
		.amdhsa_system_vgpr_workitem_id 0
		.amdhsa_next_free_vgpr 50
		.amdhsa_next_free_sgpr 34
		.amdhsa_reserve_vcc 1
		.amdhsa_float_round_mode_32 0
		.amdhsa_float_round_mode_16_64 0
		.amdhsa_float_denorm_mode_32 3
		.amdhsa_float_denorm_mode_16_64 3
		.amdhsa_dx10_clamp 1
		.amdhsa_ieee_mode 1
		.amdhsa_fp16_overflow 0
		.amdhsa_workgroup_processor_mode 1
		.amdhsa_memory_ordered 1
		.amdhsa_forward_progress 0
		.amdhsa_shared_vgpr_count 0
		.amdhsa_exception_fp_ieee_invalid_op 0
		.amdhsa_exception_fp_denorm_src 0
		.amdhsa_exception_fp_ieee_div_zero 0
		.amdhsa_exception_fp_ieee_overflow 0
		.amdhsa_exception_fp_ieee_underflow 0
		.amdhsa_exception_fp_ieee_inexact 0
		.amdhsa_exception_int_div_zero 0
	.end_amdhsa_kernel
	.section	.text._ZN5aiter32wv_splitk_small_fp16_bf16_kernelI6__halfLi64ELi1ELi1ELi8ELi4ELi10EEEviiPKT_S4_PS2_ii,"axG",@progbits,_ZN5aiter32wv_splitk_small_fp16_bf16_kernelI6__halfLi64ELi1ELi1ELi8ELi4ELi10EEEviiPKT_S4_PS2_ii,comdat
.Lfunc_end21:
	.size	_ZN5aiter32wv_splitk_small_fp16_bf16_kernelI6__halfLi64ELi1ELi1ELi8ELi4ELi10EEEviiPKT_S4_PS2_ii, .Lfunc_end21-_ZN5aiter32wv_splitk_small_fp16_bf16_kernelI6__halfLi64ELi1ELi1ELi8ELi4ELi10EEEviiPKT_S4_PS2_ii
                                        ; -- End function
	.section	.AMDGPU.csdata,"",@progbits
; Kernel info:
; codeLenInByte = 76
; NumSgprs: 36
; NumVgprs: 50
; ScratchSize: 64
; MemoryBound: 0
; FloatMode: 240
; IeeeMode: 1
; LDSByteSize: 0 bytes/workgroup (compile time only)
; SGPRBlocks: 4
; VGPRBlocks: 6
; NumSGPRsForWavesPerEU: 36
; NumVGPRsForWavesPerEU: 50
; Occupancy: 16
; WaveLimiterHint : 1
; COMPUTE_PGM_RSRC2:SCRATCH_EN: 1
; COMPUTE_PGM_RSRC2:USER_SGPR: 15
; COMPUTE_PGM_RSRC2:TRAP_HANDLER: 0
; COMPUTE_PGM_RSRC2:TGID_X_EN: 1
; COMPUTE_PGM_RSRC2:TGID_Y_EN: 0
; COMPUTE_PGM_RSRC2:TGID_Z_EN: 0
; COMPUTE_PGM_RSRC2:TIDIG_COMP_CNT: 0
	.section	.text._ZN5aiter32wv_splitk_small_fp16_bf16_kernelI6__halfLi64ELi1ELi1ELi8ELi4ELi11EEEviiPKT_S4_PS2_ii,"axG",@progbits,_ZN5aiter32wv_splitk_small_fp16_bf16_kernelI6__halfLi64ELi1ELi1ELi8ELi4ELi11EEEviiPKT_S4_PS2_ii,comdat
	.protected	_ZN5aiter32wv_splitk_small_fp16_bf16_kernelI6__halfLi64ELi1ELi1ELi8ELi4ELi11EEEviiPKT_S4_PS2_ii ; -- Begin function _ZN5aiter32wv_splitk_small_fp16_bf16_kernelI6__halfLi64ELi1ELi1ELi8ELi4ELi11EEEviiPKT_S4_PS2_ii
	.globl	_ZN5aiter32wv_splitk_small_fp16_bf16_kernelI6__halfLi64ELi1ELi1ELi8ELi4ELi11EEEviiPKT_S4_PS2_ii
	.p2align	8
	.type	_ZN5aiter32wv_splitk_small_fp16_bf16_kernelI6__halfLi64ELi1ELi1ELi8ELi4ELi11EEEviiPKT_S4_PS2_ii,@function
_ZN5aiter32wv_splitk_small_fp16_bf16_kernelI6__halfLi64ELi1ELi1ELi8ELi4ELi11EEEviiPKT_S4_PS2_ii: ; @_ZN5aiter32wv_splitk_small_fp16_bf16_kernelI6__halfLi64ELi1ELi1ELi8ELi4ELi11EEEviiPKT_S4_PS2_ii
; %bb.0:
	s_add_u32 s8, s0, 40
	s_addc_u32 s9, s1, 0
	s_getpc_b64 s[0:1]
	s_add_u32 s0, s0, __PRETTY_FUNCTION__._ZN5aiter32wv_splitk_small_fp16_bf16_kernelI6__halfLi64ELi1ELi1ELi8ELi4ELi11EEEviiPKT_S4_PS2_ii@rel32@lo+4
	s_addc_u32 s1, s1, __PRETTY_FUNCTION__._ZN5aiter32wv_splitk_small_fp16_bf16_kernelI6__halfLi64ELi1ELi1ELi8ELi4ELi11EEEviiPKT_S4_PS2_ii@rel32@hi+12
	v_dual_mov_b32 v0, 0x2a6 :: v_dual_mov_b32 v1, s0
	v_mov_b32_e32 v2, s1
	s_mov_b32 s32, 0
	s_getpc_b64 s[2:3]
	s_add_u32 s2, s2, __assert_fail@rel32@lo+4
	s_addc_u32 s3, s3, __assert_fail@rel32@hi+12
	s_delay_alu instid0(SALU_CYCLE_1)
	s_swappc_b64 s[30:31], s[2:3]
	.section	.rodata,"a",@progbits
	.p2align	6, 0x0
	.amdhsa_kernel _ZN5aiter32wv_splitk_small_fp16_bf16_kernelI6__halfLi64ELi1ELi1ELi8ELi4ELi11EEEviiPKT_S4_PS2_ii
		.amdhsa_group_segment_fixed_size 0
		.amdhsa_private_segment_fixed_size 64
		.amdhsa_kernarg_size 296
		.amdhsa_user_sgpr_count 15
		.amdhsa_user_sgpr_dispatch_ptr 0
		.amdhsa_user_sgpr_queue_ptr 0
		.amdhsa_user_sgpr_kernarg_segment_ptr 1
		.amdhsa_user_sgpr_dispatch_id 0
		.amdhsa_user_sgpr_private_segment_size 0
		.amdhsa_wavefront_size32 1
		.amdhsa_uses_dynamic_stack 0
		.amdhsa_enable_private_segment 1
		.amdhsa_system_sgpr_workgroup_id_x 1
		.amdhsa_system_sgpr_workgroup_id_y 0
		.amdhsa_system_sgpr_workgroup_id_z 0
		.amdhsa_system_sgpr_workgroup_info 0
		.amdhsa_system_vgpr_workitem_id 0
		.amdhsa_next_free_vgpr 50
		.amdhsa_next_free_sgpr 34
		.amdhsa_reserve_vcc 1
		.amdhsa_float_round_mode_32 0
		.amdhsa_float_round_mode_16_64 0
		.amdhsa_float_denorm_mode_32 3
		.amdhsa_float_denorm_mode_16_64 3
		.amdhsa_dx10_clamp 1
		.amdhsa_ieee_mode 1
		.amdhsa_fp16_overflow 0
		.amdhsa_workgroup_processor_mode 1
		.amdhsa_memory_ordered 1
		.amdhsa_forward_progress 0
		.amdhsa_shared_vgpr_count 0
		.amdhsa_exception_fp_ieee_invalid_op 0
		.amdhsa_exception_fp_denorm_src 0
		.amdhsa_exception_fp_ieee_div_zero 0
		.amdhsa_exception_fp_ieee_overflow 0
		.amdhsa_exception_fp_ieee_underflow 0
		.amdhsa_exception_fp_ieee_inexact 0
		.amdhsa_exception_int_div_zero 0
	.end_amdhsa_kernel
	.section	.text._ZN5aiter32wv_splitk_small_fp16_bf16_kernelI6__halfLi64ELi1ELi1ELi8ELi4ELi11EEEviiPKT_S4_PS2_ii,"axG",@progbits,_ZN5aiter32wv_splitk_small_fp16_bf16_kernelI6__halfLi64ELi1ELi1ELi8ELi4ELi11EEEviiPKT_S4_PS2_ii,comdat
.Lfunc_end22:
	.size	_ZN5aiter32wv_splitk_small_fp16_bf16_kernelI6__halfLi64ELi1ELi1ELi8ELi4ELi11EEEviiPKT_S4_PS2_ii, .Lfunc_end22-_ZN5aiter32wv_splitk_small_fp16_bf16_kernelI6__halfLi64ELi1ELi1ELi8ELi4ELi11EEEviiPKT_S4_PS2_ii
                                        ; -- End function
	.section	.AMDGPU.csdata,"",@progbits
; Kernel info:
; codeLenInByte = 76
; NumSgprs: 36
; NumVgprs: 50
; ScratchSize: 64
; MemoryBound: 0
; FloatMode: 240
; IeeeMode: 1
; LDSByteSize: 0 bytes/workgroup (compile time only)
; SGPRBlocks: 4
; VGPRBlocks: 6
; NumSGPRsForWavesPerEU: 36
; NumVGPRsForWavesPerEU: 50
; Occupancy: 16
; WaveLimiterHint : 1
; COMPUTE_PGM_RSRC2:SCRATCH_EN: 1
; COMPUTE_PGM_RSRC2:USER_SGPR: 15
; COMPUTE_PGM_RSRC2:TRAP_HANDLER: 0
; COMPUTE_PGM_RSRC2:TGID_X_EN: 1
; COMPUTE_PGM_RSRC2:TGID_Y_EN: 0
; COMPUTE_PGM_RSRC2:TGID_Z_EN: 0
; COMPUTE_PGM_RSRC2:TIDIG_COMP_CNT: 0
	.section	.text._ZN5aiter32wv_splitk_small_fp16_bf16_kernelI6__halfLi64ELi1ELi1ELi8ELi4ELi12EEEviiPKT_S4_PS2_ii,"axG",@progbits,_ZN5aiter32wv_splitk_small_fp16_bf16_kernelI6__halfLi64ELi1ELi1ELi8ELi4ELi12EEEviiPKT_S4_PS2_ii,comdat
	.protected	_ZN5aiter32wv_splitk_small_fp16_bf16_kernelI6__halfLi64ELi1ELi1ELi8ELi4ELi12EEEviiPKT_S4_PS2_ii ; -- Begin function _ZN5aiter32wv_splitk_small_fp16_bf16_kernelI6__halfLi64ELi1ELi1ELi8ELi4ELi12EEEviiPKT_S4_PS2_ii
	.globl	_ZN5aiter32wv_splitk_small_fp16_bf16_kernelI6__halfLi64ELi1ELi1ELi8ELi4ELi12EEEviiPKT_S4_PS2_ii
	.p2align	8
	.type	_ZN5aiter32wv_splitk_small_fp16_bf16_kernelI6__halfLi64ELi1ELi1ELi8ELi4ELi12EEEviiPKT_S4_PS2_ii,@function
_ZN5aiter32wv_splitk_small_fp16_bf16_kernelI6__halfLi64ELi1ELi1ELi8ELi4ELi12EEEviiPKT_S4_PS2_ii: ; @_ZN5aiter32wv_splitk_small_fp16_bf16_kernelI6__halfLi64ELi1ELi1ELi8ELi4ELi12EEEviiPKT_S4_PS2_ii
; %bb.0:
	s_add_u32 s8, s0, 40
	s_addc_u32 s9, s1, 0
	s_getpc_b64 s[0:1]
	s_add_u32 s0, s0, __PRETTY_FUNCTION__._ZN5aiter32wv_splitk_small_fp16_bf16_kernelI6__halfLi64ELi1ELi1ELi8ELi4ELi12EEEviiPKT_S4_PS2_ii@rel32@lo+4
	s_addc_u32 s1, s1, __PRETTY_FUNCTION__._ZN5aiter32wv_splitk_small_fp16_bf16_kernelI6__halfLi64ELi1ELi1ELi8ELi4ELi12EEEviiPKT_S4_PS2_ii@rel32@hi+12
	v_dual_mov_b32 v0, 0x2a6 :: v_dual_mov_b32 v1, s0
	v_mov_b32_e32 v2, s1
	s_mov_b32 s32, 0
	s_getpc_b64 s[2:3]
	s_add_u32 s2, s2, __assert_fail@rel32@lo+4
	s_addc_u32 s3, s3, __assert_fail@rel32@hi+12
	s_delay_alu instid0(SALU_CYCLE_1)
	s_swappc_b64 s[30:31], s[2:3]
	.section	.rodata,"a",@progbits
	.p2align	6, 0x0
	.amdhsa_kernel _ZN5aiter32wv_splitk_small_fp16_bf16_kernelI6__halfLi64ELi1ELi1ELi8ELi4ELi12EEEviiPKT_S4_PS2_ii
		.amdhsa_group_segment_fixed_size 0
		.amdhsa_private_segment_fixed_size 64
		.amdhsa_kernarg_size 296
		.amdhsa_user_sgpr_count 15
		.amdhsa_user_sgpr_dispatch_ptr 0
		.amdhsa_user_sgpr_queue_ptr 0
		.amdhsa_user_sgpr_kernarg_segment_ptr 1
		.amdhsa_user_sgpr_dispatch_id 0
		.amdhsa_user_sgpr_private_segment_size 0
		.amdhsa_wavefront_size32 1
		.amdhsa_uses_dynamic_stack 0
		.amdhsa_enable_private_segment 1
		.amdhsa_system_sgpr_workgroup_id_x 1
		.amdhsa_system_sgpr_workgroup_id_y 0
		.amdhsa_system_sgpr_workgroup_id_z 0
		.amdhsa_system_sgpr_workgroup_info 0
		.amdhsa_system_vgpr_workitem_id 0
		.amdhsa_next_free_vgpr 50
		.amdhsa_next_free_sgpr 34
		.amdhsa_reserve_vcc 1
		.amdhsa_float_round_mode_32 0
		.amdhsa_float_round_mode_16_64 0
		.amdhsa_float_denorm_mode_32 3
		.amdhsa_float_denorm_mode_16_64 3
		.amdhsa_dx10_clamp 1
		.amdhsa_ieee_mode 1
		.amdhsa_fp16_overflow 0
		.amdhsa_workgroup_processor_mode 1
		.amdhsa_memory_ordered 1
		.amdhsa_forward_progress 0
		.amdhsa_shared_vgpr_count 0
		.amdhsa_exception_fp_ieee_invalid_op 0
		.amdhsa_exception_fp_denorm_src 0
		.amdhsa_exception_fp_ieee_div_zero 0
		.amdhsa_exception_fp_ieee_overflow 0
		.amdhsa_exception_fp_ieee_underflow 0
		.amdhsa_exception_fp_ieee_inexact 0
		.amdhsa_exception_int_div_zero 0
	.end_amdhsa_kernel
	.section	.text._ZN5aiter32wv_splitk_small_fp16_bf16_kernelI6__halfLi64ELi1ELi1ELi8ELi4ELi12EEEviiPKT_S4_PS2_ii,"axG",@progbits,_ZN5aiter32wv_splitk_small_fp16_bf16_kernelI6__halfLi64ELi1ELi1ELi8ELi4ELi12EEEviiPKT_S4_PS2_ii,comdat
.Lfunc_end23:
	.size	_ZN5aiter32wv_splitk_small_fp16_bf16_kernelI6__halfLi64ELi1ELi1ELi8ELi4ELi12EEEviiPKT_S4_PS2_ii, .Lfunc_end23-_ZN5aiter32wv_splitk_small_fp16_bf16_kernelI6__halfLi64ELi1ELi1ELi8ELi4ELi12EEEviiPKT_S4_PS2_ii
                                        ; -- End function
	.section	.AMDGPU.csdata,"",@progbits
; Kernel info:
; codeLenInByte = 76
; NumSgprs: 36
; NumVgprs: 50
; ScratchSize: 64
; MemoryBound: 0
; FloatMode: 240
; IeeeMode: 1
; LDSByteSize: 0 bytes/workgroup (compile time only)
; SGPRBlocks: 4
; VGPRBlocks: 6
; NumSGPRsForWavesPerEU: 36
; NumVGPRsForWavesPerEU: 50
; Occupancy: 16
; WaveLimiterHint : 1
; COMPUTE_PGM_RSRC2:SCRATCH_EN: 1
; COMPUTE_PGM_RSRC2:USER_SGPR: 15
; COMPUTE_PGM_RSRC2:TRAP_HANDLER: 0
; COMPUTE_PGM_RSRC2:TGID_X_EN: 1
; COMPUTE_PGM_RSRC2:TGID_Y_EN: 0
; COMPUTE_PGM_RSRC2:TGID_Z_EN: 0
; COMPUTE_PGM_RSRC2:TIDIG_COMP_CNT: 0
	.section	.text._ZN5aiter32wv_splitk_small_fp16_bf16_kernelI6__halfLi64ELi1ELi1ELi8ELi4ELi13EEEviiPKT_S4_PS2_ii,"axG",@progbits,_ZN5aiter32wv_splitk_small_fp16_bf16_kernelI6__halfLi64ELi1ELi1ELi8ELi4ELi13EEEviiPKT_S4_PS2_ii,comdat
	.protected	_ZN5aiter32wv_splitk_small_fp16_bf16_kernelI6__halfLi64ELi1ELi1ELi8ELi4ELi13EEEviiPKT_S4_PS2_ii ; -- Begin function _ZN5aiter32wv_splitk_small_fp16_bf16_kernelI6__halfLi64ELi1ELi1ELi8ELi4ELi13EEEviiPKT_S4_PS2_ii
	.globl	_ZN5aiter32wv_splitk_small_fp16_bf16_kernelI6__halfLi64ELi1ELi1ELi8ELi4ELi13EEEviiPKT_S4_PS2_ii
	.p2align	8
	.type	_ZN5aiter32wv_splitk_small_fp16_bf16_kernelI6__halfLi64ELi1ELi1ELi8ELi4ELi13EEEviiPKT_S4_PS2_ii,@function
_ZN5aiter32wv_splitk_small_fp16_bf16_kernelI6__halfLi64ELi1ELi1ELi8ELi4ELi13EEEviiPKT_S4_PS2_ii: ; @_ZN5aiter32wv_splitk_small_fp16_bf16_kernelI6__halfLi64ELi1ELi1ELi8ELi4ELi13EEEviiPKT_S4_PS2_ii
; %bb.0:
	s_add_u32 s8, s0, 40
	s_addc_u32 s9, s1, 0
	s_getpc_b64 s[0:1]
	s_add_u32 s0, s0, __PRETTY_FUNCTION__._ZN5aiter32wv_splitk_small_fp16_bf16_kernelI6__halfLi64ELi1ELi1ELi8ELi4ELi13EEEviiPKT_S4_PS2_ii@rel32@lo+4
	s_addc_u32 s1, s1, __PRETTY_FUNCTION__._ZN5aiter32wv_splitk_small_fp16_bf16_kernelI6__halfLi64ELi1ELi1ELi8ELi4ELi13EEEviiPKT_S4_PS2_ii@rel32@hi+12
	v_dual_mov_b32 v0, 0x2a6 :: v_dual_mov_b32 v1, s0
	v_mov_b32_e32 v2, s1
	s_mov_b32 s32, 0
	s_getpc_b64 s[2:3]
	s_add_u32 s2, s2, __assert_fail@rel32@lo+4
	s_addc_u32 s3, s3, __assert_fail@rel32@hi+12
	s_delay_alu instid0(SALU_CYCLE_1)
	s_swappc_b64 s[30:31], s[2:3]
	.section	.rodata,"a",@progbits
	.p2align	6, 0x0
	.amdhsa_kernel _ZN5aiter32wv_splitk_small_fp16_bf16_kernelI6__halfLi64ELi1ELi1ELi8ELi4ELi13EEEviiPKT_S4_PS2_ii
		.amdhsa_group_segment_fixed_size 0
		.amdhsa_private_segment_fixed_size 64
		.amdhsa_kernarg_size 296
		.amdhsa_user_sgpr_count 15
		.amdhsa_user_sgpr_dispatch_ptr 0
		.amdhsa_user_sgpr_queue_ptr 0
		.amdhsa_user_sgpr_kernarg_segment_ptr 1
		.amdhsa_user_sgpr_dispatch_id 0
		.amdhsa_user_sgpr_private_segment_size 0
		.amdhsa_wavefront_size32 1
		.amdhsa_uses_dynamic_stack 0
		.amdhsa_enable_private_segment 1
		.amdhsa_system_sgpr_workgroup_id_x 1
		.amdhsa_system_sgpr_workgroup_id_y 0
		.amdhsa_system_sgpr_workgroup_id_z 0
		.amdhsa_system_sgpr_workgroup_info 0
		.amdhsa_system_vgpr_workitem_id 0
		.amdhsa_next_free_vgpr 50
		.amdhsa_next_free_sgpr 34
		.amdhsa_reserve_vcc 1
		.amdhsa_float_round_mode_32 0
		.amdhsa_float_round_mode_16_64 0
		.amdhsa_float_denorm_mode_32 3
		.amdhsa_float_denorm_mode_16_64 3
		.amdhsa_dx10_clamp 1
		.amdhsa_ieee_mode 1
		.amdhsa_fp16_overflow 0
		.amdhsa_workgroup_processor_mode 1
		.amdhsa_memory_ordered 1
		.amdhsa_forward_progress 0
		.amdhsa_shared_vgpr_count 0
		.amdhsa_exception_fp_ieee_invalid_op 0
		.amdhsa_exception_fp_denorm_src 0
		.amdhsa_exception_fp_ieee_div_zero 0
		.amdhsa_exception_fp_ieee_overflow 0
		.amdhsa_exception_fp_ieee_underflow 0
		.amdhsa_exception_fp_ieee_inexact 0
		.amdhsa_exception_int_div_zero 0
	.end_amdhsa_kernel
	.section	.text._ZN5aiter32wv_splitk_small_fp16_bf16_kernelI6__halfLi64ELi1ELi1ELi8ELi4ELi13EEEviiPKT_S4_PS2_ii,"axG",@progbits,_ZN5aiter32wv_splitk_small_fp16_bf16_kernelI6__halfLi64ELi1ELi1ELi8ELi4ELi13EEEviiPKT_S4_PS2_ii,comdat
.Lfunc_end24:
	.size	_ZN5aiter32wv_splitk_small_fp16_bf16_kernelI6__halfLi64ELi1ELi1ELi8ELi4ELi13EEEviiPKT_S4_PS2_ii, .Lfunc_end24-_ZN5aiter32wv_splitk_small_fp16_bf16_kernelI6__halfLi64ELi1ELi1ELi8ELi4ELi13EEEviiPKT_S4_PS2_ii
                                        ; -- End function
	.section	.AMDGPU.csdata,"",@progbits
; Kernel info:
; codeLenInByte = 76
; NumSgprs: 36
; NumVgprs: 50
; ScratchSize: 64
; MemoryBound: 0
; FloatMode: 240
; IeeeMode: 1
; LDSByteSize: 0 bytes/workgroup (compile time only)
; SGPRBlocks: 4
; VGPRBlocks: 6
; NumSGPRsForWavesPerEU: 36
; NumVGPRsForWavesPerEU: 50
; Occupancy: 16
; WaveLimiterHint : 1
; COMPUTE_PGM_RSRC2:SCRATCH_EN: 1
; COMPUTE_PGM_RSRC2:USER_SGPR: 15
; COMPUTE_PGM_RSRC2:TRAP_HANDLER: 0
; COMPUTE_PGM_RSRC2:TGID_X_EN: 1
; COMPUTE_PGM_RSRC2:TGID_Y_EN: 0
; COMPUTE_PGM_RSRC2:TGID_Z_EN: 0
; COMPUTE_PGM_RSRC2:TIDIG_COMP_CNT: 0
	.section	.text._ZN5aiter32wv_splitk_small_fp16_bf16_kernelI6__halfLi64ELi1ELi1ELi8ELi4ELi14EEEviiPKT_S4_PS2_ii,"axG",@progbits,_ZN5aiter32wv_splitk_small_fp16_bf16_kernelI6__halfLi64ELi1ELi1ELi8ELi4ELi14EEEviiPKT_S4_PS2_ii,comdat
	.protected	_ZN5aiter32wv_splitk_small_fp16_bf16_kernelI6__halfLi64ELi1ELi1ELi8ELi4ELi14EEEviiPKT_S4_PS2_ii ; -- Begin function _ZN5aiter32wv_splitk_small_fp16_bf16_kernelI6__halfLi64ELi1ELi1ELi8ELi4ELi14EEEviiPKT_S4_PS2_ii
	.globl	_ZN5aiter32wv_splitk_small_fp16_bf16_kernelI6__halfLi64ELi1ELi1ELi8ELi4ELi14EEEviiPKT_S4_PS2_ii
	.p2align	8
	.type	_ZN5aiter32wv_splitk_small_fp16_bf16_kernelI6__halfLi64ELi1ELi1ELi8ELi4ELi14EEEviiPKT_S4_PS2_ii,@function
_ZN5aiter32wv_splitk_small_fp16_bf16_kernelI6__halfLi64ELi1ELi1ELi8ELi4ELi14EEEviiPKT_S4_PS2_ii: ; @_ZN5aiter32wv_splitk_small_fp16_bf16_kernelI6__halfLi64ELi1ELi1ELi8ELi4ELi14EEEviiPKT_S4_PS2_ii
; %bb.0:
	s_add_u32 s8, s0, 40
	s_addc_u32 s9, s1, 0
	s_getpc_b64 s[0:1]
	s_add_u32 s0, s0, __PRETTY_FUNCTION__._ZN5aiter32wv_splitk_small_fp16_bf16_kernelI6__halfLi64ELi1ELi1ELi8ELi4ELi14EEEviiPKT_S4_PS2_ii@rel32@lo+4
	s_addc_u32 s1, s1, __PRETTY_FUNCTION__._ZN5aiter32wv_splitk_small_fp16_bf16_kernelI6__halfLi64ELi1ELi1ELi8ELi4ELi14EEEviiPKT_S4_PS2_ii@rel32@hi+12
	v_dual_mov_b32 v0, 0x2a6 :: v_dual_mov_b32 v1, s0
	v_mov_b32_e32 v2, s1
	s_mov_b32 s32, 0
	s_getpc_b64 s[2:3]
	s_add_u32 s2, s2, __assert_fail@rel32@lo+4
	s_addc_u32 s3, s3, __assert_fail@rel32@hi+12
	s_delay_alu instid0(SALU_CYCLE_1)
	s_swappc_b64 s[30:31], s[2:3]
	.section	.rodata,"a",@progbits
	.p2align	6, 0x0
	.amdhsa_kernel _ZN5aiter32wv_splitk_small_fp16_bf16_kernelI6__halfLi64ELi1ELi1ELi8ELi4ELi14EEEviiPKT_S4_PS2_ii
		.amdhsa_group_segment_fixed_size 0
		.amdhsa_private_segment_fixed_size 64
		.amdhsa_kernarg_size 296
		.amdhsa_user_sgpr_count 15
		.amdhsa_user_sgpr_dispatch_ptr 0
		.amdhsa_user_sgpr_queue_ptr 0
		.amdhsa_user_sgpr_kernarg_segment_ptr 1
		.amdhsa_user_sgpr_dispatch_id 0
		.amdhsa_user_sgpr_private_segment_size 0
		.amdhsa_wavefront_size32 1
		.amdhsa_uses_dynamic_stack 0
		.amdhsa_enable_private_segment 1
		.amdhsa_system_sgpr_workgroup_id_x 1
		.amdhsa_system_sgpr_workgroup_id_y 0
		.amdhsa_system_sgpr_workgroup_id_z 0
		.amdhsa_system_sgpr_workgroup_info 0
		.amdhsa_system_vgpr_workitem_id 0
		.amdhsa_next_free_vgpr 50
		.amdhsa_next_free_sgpr 34
		.amdhsa_reserve_vcc 1
		.amdhsa_float_round_mode_32 0
		.amdhsa_float_round_mode_16_64 0
		.amdhsa_float_denorm_mode_32 3
		.amdhsa_float_denorm_mode_16_64 3
		.amdhsa_dx10_clamp 1
		.amdhsa_ieee_mode 1
		.amdhsa_fp16_overflow 0
		.amdhsa_workgroup_processor_mode 1
		.amdhsa_memory_ordered 1
		.amdhsa_forward_progress 0
		.amdhsa_shared_vgpr_count 0
		.amdhsa_exception_fp_ieee_invalid_op 0
		.amdhsa_exception_fp_denorm_src 0
		.amdhsa_exception_fp_ieee_div_zero 0
		.amdhsa_exception_fp_ieee_overflow 0
		.amdhsa_exception_fp_ieee_underflow 0
		.amdhsa_exception_fp_ieee_inexact 0
		.amdhsa_exception_int_div_zero 0
	.end_amdhsa_kernel
	.section	.text._ZN5aiter32wv_splitk_small_fp16_bf16_kernelI6__halfLi64ELi1ELi1ELi8ELi4ELi14EEEviiPKT_S4_PS2_ii,"axG",@progbits,_ZN5aiter32wv_splitk_small_fp16_bf16_kernelI6__halfLi64ELi1ELi1ELi8ELi4ELi14EEEviiPKT_S4_PS2_ii,comdat
.Lfunc_end25:
	.size	_ZN5aiter32wv_splitk_small_fp16_bf16_kernelI6__halfLi64ELi1ELi1ELi8ELi4ELi14EEEviiPKT_S4_PS2_ii, .Lfunc_end25-_ZN5aiter32wv_splitk_small_fp16_bf16_kernelI6__halfLi64ELi1ELi1ELi8ELi4ELi14EEEviiPKT_S4_PS2_ii
                                        ; -- End function
	.section	.AMDGPU.csdata,"",@progbits
; Kernel info:
; codeLenInByte = 76
; NumSgprs: 36
; NumVgprs: 50
; ScratchSize: 64
; MemoryBound: 0
; FloatMode: 240
; IeeeMode: 1
; LDSByteSize: 0 bytes/workgroup (compile time only)
; SGPRBlocks: 4
; VGPRBlocks: 6
; NumSGPRsForWavesPerEU: 36
; NumVGPRsForWavesPerEU: 50
; Occupancy: 16
; WaveLimiterHint : 1
; COMPUTE_PGM_RSRC2:SCRATCH_EN: 1
; COMPUTE_PGM_RSRC2:USER_SGPR: 15
; COMPUTE_PGM_RSRC2:TRAP_HANDLER: 0
; COMPUTE_PGM_RSRC2:TGID_X_EN: 1
; COMPUTE_PGM_RSRC2:TGID_Y_EN: 0
; COMPUTE_PGM_RSRC2:TGID_Z_EN: 0
; COMPUTE_PGM_RSRC2:TIDIG_COMP_CNT: 0
	.section	.text._ZN5aiter32wv_splitk_small_fp16_bf16_kernelI6__halfLi64ELi1ELi1ELi8ELi4ELi15EEEviiPKT_S4_PS2_ii,"axG",@progbits,_ZN5aiter32wv_splitk_small_fp16_bf16_kernelI6__halfLi64ELi1ELi1ELi8ELi4ELi15EEEviiPKT_S4_PS2_ii,comdat
	.protected	_ZN5aiter32wv_splitk_small_fp16_bf16_kernelI6__halfLi64ELi1ELi1ELi8ELi4ELi15EEEviiPKT_S4_PS2_ii ; -- Begin function _ZN5aiter32wv_splitk_small_fp16_bf16_kernelI6__halfLi64ELi1ELi1ELi8ELi4ELi15EEEviiPKT_S4_PS2_ii
	.globl	_ZN5aiter32wv_splitk_small_fp16_bf16_kernelI6__halfLi64ELi1ELi1ELi8ELi4ELi15EEEviiPKT_S4_PS2_ii
	.p2align	8
	.type	_ZN5aiter32wv_splitk_small_fp16_bf16_kernelI6__halfLi64ELi1ELi1ELi8ELi4ELi15EEEviiPKT_S4_PS2_ii,@function
_ZN5aiter32wv_splitk_small_fp16_bf16_kernelI6__halfLi64ELi1ELi1ELi8ELi4ELi15EEEviiPKT_S4_PS2_ii: ; @_ZN5aiter32wv_splitk_small_fp16_bf16_kernelI6__halfLi64ELi1ELi1ELi8ELi4ELi15EEEviiPKT_S4_PS2_ii
; %bb.0:
	s_add_u32 s8, s0, 40
	s_addc_u32 s9, s1, 0
	s_getpc_b64 s[0:1]
	s_add_u32 s0, s0, __PRETTY_FUNCTION__._ZN5aiter32wv_splitk_small_fp16_bf16_kernelI6__halfLi64ELi1ELi1ELi8ELi4ELi15EEEviiPKT_S4_PS2_ii@rel32@lo+4
	s_addc_u32 s1, s1, __PRETTY_FUNCTION__._ZN5aiter32wv_splitk_small_fp16_bf16_kernelI6__halfLi64ELi1ELi1ELi8ELi4ELi15EEEviiPKT_S4_PS2_ii@rel32@hi+12
	v_dual_mov_b32 v0, 0x2a6 :: v_dual_mov_b32 v1, s0
	v_mov_b32_e32 v2, s1
	s_mov_b32 s32, 0
	s_getpc_b64 s[2:3]
	s_add_u32 s2, s2, __assert_fail@rel32@lo+4
	s_addc_u32 s3, s3, __assert_fail@rel32@hi+12
	s_delay_alu instid0(SALU_CYCLE_1)
	s_swappc_b64 s[30:31], s[2:3]
	.section	.rodata,"a",@progbits
	.p2align	6, 0x0
	.amdhsa_kernel _ZN5aiter32wv_splitk_small_fp16_bf16_kernelI6__halfLi64ELi1ELi1ELi8ELi4ELi15EEEviiPKT_S4_PS2_ii
		.amdhsa_group_segment_fixed_size 0
		.amdhsa_private_segment_fixed_size 64
		.amdhsa_kernarg_size 296
		.amdhsa_user_sgpr_count 15
		.amdhsa_user_sgpr_dispatch_ptr 0
		.amdhsa_user_sgpr_queue_ptr 0
		.amdhsa_user_sgpr_kernarg_segment_ptr 1
		.amdhsa_user_sgpr_dispatch_id 0
		.amdhsa_user_sgpr_private_segment_size 0
		.amdhsa_wavefront_size32 1
		.amdhsa_uses_dynamic_stack 0
		.amdhsa_enable_private_segment 1
		.amdhsa_system_sgpr_workgroup_id_x 1
		.amdhsa_system_sgpr_workgroup_id_y 0
		.amdhsa_system_sgpr_workgroup_id_z 0
		.amdhsa_system_sgpr_workgroup_info 0
		.amdhsa_system_vgpr_workitem_id 0
		.amdhsa_next_free_vgpr 50
		.amdhsa_next_free_sgpr 34
		.amdhsa_reserve_vcc 1
		.amdhsa_float_round_mode_32 0
		.amdhsa_float_round_mode_16_64 0
		.amdhsa_float_denorm_mode_32 3
		.amdhsa_float_denorm_mode_16_64 3
		.amdhsa_dx10_clamp 1
		.amdhsa_ieee_mode 1
		.amdhsa_fp16_overflow 0
		.amdhsa_workgroup_processor_mode 1
		.amdhsa_memory_ordered 1
		.amdhsa_forward_progress 0
		.amdhsa_shared_vgpr_count 0
		.amdhsa_exception_fp_ieee_invalid_op 0
		.amdhsa_exception_fp_denorm_src 0
		.amdhsa_exception_fp_ieee_div_zero 0
		.amdhsa_exception_fp_ieee_overflow 0
		.amdhsa_exception_fp_ieee_underflow 0
		.amdhsa_exception_fp_ieee_inexact 0
		.amdhsa_exception_int_div_zero 0
	.end_amdhsa_kernel
	.section	.text._ZN5aiter32wv_splitk_small_fp16_bf16_kernelI6__halfLi64ELi1ELi1ELi8ELi4ELi15EEEviiPKT_S4_PS2_ii,"axG",@progbits,_ZN5aiter32wv_splitk_small_fp16_bf16_kernelI6__halfLi64ELi1ELi1ELi8ELi4ELi15EEEviiPKT_S4_PS2_ii,comdat
.Lfunc_end26:
	.size	_ZN5aiter32wv_splitk_small_fp16_bf16_kernelI6__halfLi64ELi1ELi1ELi8ELi4ELi15EEEviiPKT_S4_PS2_ii, .Lfunc_end26-_ZN5aiter32wv_splitk_small_fp16_bf16_kernelI6__halfLi64ELi1ELi1ELi8ELi4ELi15EEEviiPKT_S4_PS2_ii
                                        ; -- End function
	.section	.AMDGPU.csdata,"",@progbits
; Kernel info:
; codeLenInByte = 76
; NumSgprs: 36
; NumVgprs: 50
; ScratchSize: 64
; MemoryBound: 0
; FloatMode: 240
; IeeeMode: 1
; LDSByteSize: 0 bytes/workgroup (compile time only)
; SGPRBlocks: 4
; VGPRBlocks: 6
; NumSGPRsForWavesPerEU: 36
; NumVGPRsForWavesPerEU: 50
; Occupancy: 16
; WaveLimiterHint : 1
; COMPUTE_PGM_RSRC2:SCRATCH_EN: 1
; COMPUTE_PGM_RSRC2:USER_SGPR: 15
; COMPUTE_PGM_RSRC2:TRAP_HANDLER: 0
; COMPUTE_PGM_RSRC2:TGID_X_EN: 1
; COMPUTE_PGM_RSRC2:TGID_Y_EN: 0
; COMPUTE_PGM_RSRC2:TGID_Z_EN: 0
; COMPUTE_PGM_RSRC2:TIDIG_COMP_CNT: 0
	.section	.text._ZN5aiter32wv_splitk_small_fp16_bf16_kernelI6__halfLi64ELi1ELi1ELi8ELi4ELi16EEEviiPKT_S4_PS2_ii,"axG",@progbits,_ZN5aiter32wv_splitk_small_fp16_bf16_kernelI6__halfLi64ELi1ELi1ELi8ELi4ELi16EEEviiPKT_S4_PS2_ii,comdat
	.protected	_ZN5aiter32wv_splitk_small_fp16_bf16_kernelI6__halfLi64ELi1ELi1ELi8ELi4ELi16EEEviiPKT_S4_PS2_ii ; -- Begin function _ZN5aiter32wv_splitk_small_fp16_bf16_kernelI6__halfLi64ELi1ELi1ELi8ELi4ELi16EEEviiPKT_S4_PS2_ii
	.globl	_ZN5aiter32wv_splitk_small_fp16_bf16_kernelI6__halfLi64ELi1ELi1ELi8ELi4ELi16EEEviiPKT_S4_PS2_ii
	.p2align	8
	.type	_ZN5aiter32wv_splitk_small_fp16_bf16_kernelI6__halfLi64ELi1ELi1ELi8ELi4ELi16EEEviiPKT_S4_PS2_ii,@function
_ZN5aiter32wv_splitk_small_fp16_bf16_kernelI6__halfLi64ELi1ELi1ELi8ELi4ELi16EEEviiPKT_S4_PS2_ii: ; @_ZN5aiter32wv_splitk_small_fp16_bf16_kernelI6__halfLi64ELi1ELi1ELi8ELi4ELi16EEEviiPKT_S4_PS2_ii
; %bb.0:
	s_add_u32 s8, s0, 40
	s_addc_u32 s9, s1, 0
	s_getpc_b64 s[0:1]
	s_add_u32 s0, s0, __PRETTY_FUNCTION__._ZN5aiter32wv_splitk_small_fp16_bf16_kernelI6__halfLi64ELi1ELi1ELi8ELi4ELi16EEEviiPKT_S4_PS2_ii@rel32@lo+4
	s_addc_u32 s1, s1, __PRETTY_FUNCTION__._ZN5aiter32wv_splitk_small_fp16_bf16_kernelI6__halfLi64ELi1ELi1ELi8ELi4ELi16EEEviiPKT_S4_PS2_ii@rel32@hi+12
	v_dual_mov_b32 v0, 0x2a6 :: v_dual_mov_b32 v1, s0
	v_mov_b32_e32 v2, s1
	s_mov_b32 s32, 0
	s_getpc_b64 s[2:3]
	s_add_u32 s2, s2, __assert_fail@rel32@lo+4
	s_addc_u32 s3, s3, __assert_fail@rel32@hi+12
	s_delay_alu instid0(SALU_CYCLE_1)
	s_swappc_b64 s[30:31], s[2:3]
	.section	.rodata,"a",@progbits
	.p2align	6, 0x0
	.amdhsa_kernel _ZN5aiter32wv_splitk_small_fp16_bf16_kernelI6__halfLi64ELi1ELi1ELi8ELi4ELi16EEEviiPKT_S4_PS2_ii
		.amdhsa_group_segment_fixed_size 0
		.amdhsa_private_segment_fixed_size 64
		.amdhsa_kernarg_size 296
		.amdhsa_user_sgpr_count 15
		.amdhsa_user_sgpr_dispatch_ptr 0
		.amdhsa_user_sgpr_queue_ptr 0
		.amdhsa_user_sgpr_kernarg_segment_ptr 1
		.amdhsa_user_sgpr_dispatch_id 0
		.amdhsa_user_sgpr_private_segment_size 0
		.amdhsa_wavefront_size32 1
		.amdhsa_uses_dynamic_stack 0
		.amdhsa_enable_private_segment 1
		.amdhsa_system_sgpr_workgroup_id_x 1
		.amdhsa_system_sgpr_workgroup_id_y 0
		.amdhsa_system_sgpr_workgroup_id_z 0
		.amdhsa_system_sgpr_workgroup_info 0
		.amdhsa_system_vgpr_workitem_id 0
		.amdhsa_next_free_vgpr 50
		.amdhsa_next_free_sgpr 34
		.amdhsa_reserve_vcc 1
		.amdhsa_float_round_mode_32 0
		.amdhsa_float_round_mode_16_64 0
		.amdhsa_float_denorm_mode_32 3
		.amdhsa_float_denorm_mode_16_64 3
		.amdhsa_dx10_clamp 1
		.amdhsa_ieee_mode 1
		.amdhsa_fp16_overflow 0
		.amdhsa_workgroup_processor_mode 1
		.amdhsa_memory_ordered 1
		.amdhsa_forward_progress 0
		.amdhsa_shared_vgpr_count 0
		.amdhsa_exception_fp_ieee_invalid_op 0
		.amdhsa_exception_fp_denorm_src 0
		.amdhsa_exception_fp_ieee_div_zero 0
		.amdhsa_exception_fp_ieee_overflow 0
		.amdhsa_exception_fp_ieee_underflow 0
		.amdhsa_exception_fp_ieee_inexact 0
		.amdhsa_exception_int_div_zero 0
	.end_amdhsa_kernel
	.section	.text._ZN5aiter32wv_splitk_small_fp16_bf16_kernelI6__halfLi64ELi1ELi1ELi8ELi4ELi16EEEviiPKT_S4_PS2_ii,"axG",@progbits,_ZN5aiter32wv_splitk_small_fp16_bf16_kernelI6__halfLi64ELi1ELi1ELi8ELi4ELi16EEEviiPKT_S4_PS2_ii,comdat
.Lfunc_end27:
	.size	_ZN5aiter32wv_splitk_small_fp16_bf16_kernelI6__halfLi64ELi1ELi1ELi8ELi4ELi16EEEviiPKT_S4_PS2_ii, .Lfunc_end27-_ZN5aiter32wv_splitk_small_fp16_bf16_kernelI6__halfLi64ELi1ELi1ELi8ELi4ELi16EEEviiPKT_S4_PS2_ii
                                        ; -- End function
	.section	.AMDGPU.csdata,"",@progbits
; Kernel info:
; codeLenInByte = 76
; NumSgprs: 36
; NumVgprs: 50
; ScratchSize: 64
; MemoryBound: 0
; FloatMode: 240
; IeeeMode: 1
; LDSByteSize: 0 bytes/workgroup (compile time only)
; SGPRBlocks: 4
; VGPRBlocks: 6
; NumSGPRsForWavesPerEU: 36
; NumVGPRsForWavesPerEU: 50
; Occupancy: 16
; WaveLimiterHint : 1
; COMPUTE_PGM_RSRC2:SCRATCH_EN: 1
; COMPUTE_PGM_RSRC2:USER_SGPR: 15
; COMPUTE_PGM_RSRC2:TRAP_HANDLER: 0
; COMPUTE_PGM_RSRC2:TGID_X_EN: 1
; COMPUTE_PGM_RSRC2:TGID_Y_EN: 0
; COMPUTE_PGM_RSRC2:TGID_Z_EN: 0
; COMPUTE_PGM_RSRC2:TIDIG_COMP_CNT: 0
	.section	.text._ZN5aiter32wv_splitk_small_fp16_bf16_kernelI14__hip_bfloat16Li64ELi1ELi1ELi8ELi4ELi1EEEviiPKT_S4_PS2_ii,"axG",@progbits,_ZN5aiter32wv_splitk_small_fp16_bf16_kernelI14__hip_bfloat16Li64ELi1ELi1ELi8ELi4ELi1EEEviiPKT_S4_PS2_ii,comdat
	.protected	_ZN5aiter32wv_splitk_small_fp16_bf16_kernelI14__hip_bfloat16Li64ELi1ELi1ELi8ELi4ELi1EEEviiPKT_S4_PS2_ii ; -- Begin function _ZN5aiter32wv_splitk_small_fp16_bf16_kernelI14__hip_bfloat16Li64ELi1ELi1ELi8ELi4ELi1EEEviiPKT_S4_PS2_ii
	.globl	_ZN5aiter32wv_splitk_small_fp16_bf16_kernelI14__hip_bfloat16Li64ELi1ELi1ELi8ELi4ELi1EEEviiPKT_S4_PS2_ii
	.p2align	8
	.type	_ZN5aiter32wv_splitk_small_fp16_bf16_kernelI14__hip_bfloat16Li64ELi1ELi1ELi8ELi4ELi1EEEviiPKT_S4_PS2_ii,@function
_ZN5aiter32wv_splitk_small_fp16_bf16_kernelI14__hip_bfloat16Li64ELi1ELi1ELi8ELi4ELi1EEEviiPKT_S4_PS2_ii: ; @_ZN5aiter32wv_splitk_small_fp16_bf16_kernelI14__hip_bfloat16Li64ELi1ELi1ELi8ELi4ELi1EEEviiPKT_S4_PS2_ii
; %bb.0:
	s_add_u32 s8, s0, 40
	s_addc_u32 s9, s1, 0
	s_getpc_b64 s[0:1]
	s_add_u32 s0, s0, __PRETTY_FUNCTION__._ZN5aiter32wv_splitk_small_fp16_bf16_kernelI14__hip_bfloat16Li64ELi1ELi1ELi8ELi4ELi1EEEviiPKT_S4_PS2_ii@rel32@lo+4
	s_addc_u32 s1, s1, __PRETTY_FUNCTION__._ZN5aiter32wv_splitk_small_fp16_bf16_kernelI14__hip_bfloat16Li64ELi1ELi1ELi8ELi4ELi1EEEviiPKT_S4_PS2_ii@rel32@hi+12
	v_dual_mov_b32 v0, 0x2a6 :: v_dual_mov_b32 v1, s0
	v_mov_b32_e32 v2, s1
	s_mov_b32 s32, 0
	s_getpc_b64 s[2:3]
	s_add_u32 s2, s2, __assert_fail@rel32@lo+4
	s_addc_u32 s3, s3, __assert_fail@rel32@hi+12
	s_delay_alu instid0(SALU_CYCLE_1)
	s_swappc_b64 s[30:31], s[2:3]
	.section	.rodata,"a",@progbits
	.p2align	6, 0x0
	.amdhsa_kernel _ZN5aiter32wv_splitk_small_fp16_bf16_kernelI14__hip_bfloat16Li64ELi1ELi1ELi8ELi4ELi1EEEviiPKT_S4_PS2_ii
		.amdhsa_group_segment_fixed_size 0
		.amdhsa_private_segment_fixed_size 64
		.amdhsa_kernarg_size 296
		.amdhsa_user_sgpr_count 15
		.amdhsa_user_sgpr_dispatch_ptr 0
		.amdhsa_user_sgpr_queue_ptr 0
		.amdhsa_user_sgpr_kernarg_segment_ptr 1
		.amdhsa_user_sgpr_dispatch_id 0
		.amdhsa_user_sgpr_private_segment_size 0
		.amdhsa_wavefront_size32 1
		.amdhsa_uses_dynamic_stack 0
		.amdhsa_enable_private_segment 1
		.amdhsa_system_sgpr_workgroup_id_x 1
		.amdhsa_system_sgpr_workgroup_id_y 0
		.amdhsa_system_sgpr_workgroup_id_z 0
		.amdhsa_system_sgpr_workgroup_info 0
		.amdhsa_system_vgpr_workitem_id 0
		.amdhsa_next_free_vgpr 50
		.amdhsa_next_free_sgpr 34
		.amdhsa_reserve_vcc 1
		.amdhsa_float_round_mode_32 0
		.amdhsa_float_round_mode_16_64 0
		.amdhsa_float_denorm_mode_32 3
		.amdhsa_float_denorm_mode_16_64 3
		.amdhsa_dx10_clamp 1
		.amdhsa_ieee_mode 1
		.amdhsa_fp16_overflow 0
		.amdhsa_workgroup_processor_mode 1
		.amdhsa_memory_ordered 1
		.amdhsa_forward_progress 0
		.amdhsa_shared_vgpr_count 0
		.amdhsa_exception_fp_ieee_invalid_op 0
		.amdhsa_exception_fp_denorm_src 0
		.amdhsa_exception_fp_ieee_div_zero 0
		.amdhsa_exception_fp_ieee_overflow 0
		.amdhsa_exception_fp_ieee_underflow 0
		.amdhsa_exception_fp_ieee_inexact 0
		.amdhsa_exception_int_div_zero 0
	.end_amdhsa_kernel
	.section	.text._ZN5aiter32wv_splitk_small_fp16_bf16_kernelI14__hip_bfloat16Li64ELi1ELi1ELi8ELi4ELi1EEEviiPKT_S4_PS2_ii,"axG",@progbits,_ZN5aiter32wv_splitk_small_fp16_bf16_kernelI14__hip_bfloat16Li64ELi1ELi1ELi8ELi4ELi1EEEviiPKT_S4_PS2_ii,comdat
.Lfunc_end28:
	.size	_ZN5aiter32wv_splitk_small_fp16_bf16_kernelI14__hip_bfloat16Li64ELi1ELi1ELi8ELi4ELi1EEEviiPKT_S4_PS2_ii, .Lfunc_end28-_ZN5aiter32wv_splitk_small_fp16_bf16_kernelI14__hip_bfloat16Li64ELi1ELi1ELi8ELi4ELi1EEEviiPKT_S4_PS2_ii
                                        ; -- End function
	.section	.AMDGPU.csdata,"",@progbits
; Kernel info:
; codeLenInByte = 76
; NumSgprs: 36
; NumVgprs: 50
; ScratchSize: 64
; MemoryBound: 0
; FloatMode: 240
; IeeeMode: 1
; LDSByteSize: 0 bytes/workgroup (compile time only)
; SGPRBlocks: 4
; VGPRBlocks: 6
; NumSGPRsForWavesPerEU: 36
; NumVGPRsForWavesPerEU: 50
; Occupancy: 16
; WaveLimiterHint : 1
; COMPUTE_PGM_RSRC2:SCRATCH_EN: 1
; COMPUTE_PGM_RSRC2:USER_SGPR: 15
; COMPUTE_PGM_RSRC2:TRAP_HANDLER: 0
; COMPUTE_PGM_RSRC2:TGID_X_EN: 1
; COMPUTE_PGM_RSRC2:TGID_Y_EN: 0
; COMPUTE_PGM_RSRC2:TGID_Z_EN: 0
; COMPUTE_PGM_RSRC2:TIDIG_COMP_CNT: 0
	.section	.text._ZN5aiter32wv_splitk_small_fp16_bf16_kernelI14__hip_bfloat16Li64ELi1ELi1ELi8ELi4ELi2EEEviiPKT_S4_PS2_ii,"axG",@progbits,_ZN5aiter32wv_splitk_small_fp16_bf16_kernelI14__hip_bfloat16Li64ELi1ELi1ELi8ELi4ELi2EEEviiPKT_S4_PS2_ii,comdat
	.protected	_ZN5aiter32wv_splitk_small_fp16_bf16_kernelI14__hip_bfloat16Li64ELi1ELi1ELi8ELi4ELi2EEEviiPKT_S4_PS2_ii ; -- Begin function _ZN5aiter32wv_splitk_small_fp16_bf16_kernelI14__hip_bfloat16Li64ELi1ELi1ELi8ELi4ELi2EEEviiPKT_S4_PS2_ii
	.globl	_ZN5aiter32wv_splitk_small_fp16_bf16_kernelI14__hip_bfloat16Li64ELi1ELi1ELi8ELi4ELi2EEEviiPKT_S4_PS2_ii
	.p2align	8
	.type	_ZN5aiter32wv_splitk_small_fp16_bf16_kernelI14__hip_bfloat16Li64ELi1ELi1ELi8ELi4ELi2EEEviiPKT_S4_PS2_ii,@function
_ZN5aiter32wv_splitk_small_fp16_bf16_kernelI14__hip_bfloat16Li64ELi1ELi1ELi8ELi4ELi2EEEviiPKT_S4_PS2_ii: ; @_ZN5aiter32wv_splitk_small_fp16_bf16_kernelI14__hip_bfloat16Li64ELi1ELi1ELi8ELi4ELi2EEEviiPKT_S4_PS2_ii
; %bb.0:
	s_add_u32 s8, s0, 40
	s_addc_u32 s9, s1, 0
	s_getpc_b64 s[0:1]
	s_add_u32 s0, s0, __PRETTY_FUNCTION__._ZN5aiter32wv_splitk_small_fp16_bf16_kernelI14__hip_bfloat16Li64ELi1ELi1ELi8ELi4ELi2EEEviiPKT_S4_PS2_ii@rel32@lo+4
	s_addc_u32 s1, s1, __PRETTY_FUNCTION__._ZN5aiter32wv_splitk_small_fp16_bf16_kernelI14__hip_bfloat16Li64ELi1ELi1ELi8ELi4ELi2EEEviiPKT_S4_PS2_ii@rel32@hi+12
	v_dual_mov_b32 v0, 0x2a6 :: v_dual_mov_b32 v1, s0
	v_mov_b32_e32 v2, s1
	s_mov_b32 s32, 0
	s_getpc_b64 s[2:3]
	s_add_u32 s2, s2, __assert_fail@rel32@lo+4
	s_addc_u32 s3, s3, __assert_fail@rel32@hi+12
	s_delay_alu instid0(SALU_CYCLE_1)
	s_swappc_b64 s[30:31], s[2:3]
	.section	.rodata,"a",@progbits
	.p2align	6, 0x0
	.amdhsa_kernel _ZN5aiter32wv_splitk_small_fp16_bf16_kernelI14__hip_bfloat16Li64ELi1ELi1ELi8ELi4ELi2EEEviiPKT_S4_PS2_ii
		.amdhsa_group_segment_fixed_size 0
		.amdhsa_private_segment_fixed_size 64
		.amdhsa_kernarg_size 296
		.amdhsa_user_sgpr_count 15
		.amdhsa_user_sgpr_dispatch_ptr 0
		.amdhsa_user_sgpr_queue_ptr 0
		.amdhsa_user_sgpr_kernarg_segment_ptr 1
		.amdhsa_user_sgpr_dispatch_id 0
		.amdhsa_user_sgpr_private_segment_size 0
		.amdhsa_wavefront_size32 1
		.amdhsa_uses_dynamic_stack 0
		.amdhsa_enable_private_segment 1
		.amdhsa_system_sgpr_workgroup_id_x 1
		.amdhsa_system_sgpr_workgroup_id_y 0
		.amdhsa_system_sgpr_workgroup_id_z 0
		.amdhsa_system_sgpr_workgroup_info 0
		.amdhsa_system_vgpr_workitem_id 0
		.amdhsa_next_free_vgpr 50
		.amdhsa_next_free_sgpr 34
		.amdhsa_reserve_vcc 1
		.amdhsa_float_round_mode_32 0
		.amdhsa_float_round_mode_16_64 0
		.amdhsa_float_denorm_mode_32 3
		.amdhsa_float_denorm_mode_16_64 3
		.amdhsa_dx10_clamp 1
		.amdhsa_ieee_mode 1
		.amdhsa_fp16_overflow 0
		.amdhsa_workgroup_processor_mode 1
		.amdhsa_memory_ordered 1
		.amdhsa_forward_progress 0
		.amdhsa_shared_vgpr_count 0
		.amdhsa_exception_fp_ieee_invalid_op 0
		.amdhsa_exception_fp_denorm_src 0
		.amdhsa_exception_fp_ieee_div_zero 0
		.amdhsa_exception_fp_ieee_overflow 0
		.amdhsa_exception_fp_ieee_underflow 0
		.amdhsa_exception_fp_ieee_inexact 0
		.amdhsa_exception_int_div_zero 0
	.end_amdhsa_kernel
	.section	.text._ZN5aiter32wv_splitk_small_fp16_bf16_kernelI14__hip_bfloat16Li64ELi1ELi1ELi8ELi4ELi2EEEviiPKT_S4_PS2_ii,"axG",@progbits,_ZN5aiter32wv_splitk_small_fp16_bf16_kernelI14__hip_bfloat16Li64ELi1ELi1ELi8ELi4ELi2EEEviiPKT_S4_PS2_ii,comdat
.Lfunc_end29:
	.size	_ZN5aiter32wv_splitk_small_fp16_bf16_kernelI14__hip_bfloat16Li64ELi1ELi1ELi8ELi4ELi2EEEviiPKT_S4_PS2_ii, .Lfunc_end29-_ZN5aiter32wv_splitk_small_fp16_bf16_kernelI14__hip_bfloat16Li64ELi1ELi1ELi8ELi4ELi2EEEviiPKT_S4_PS2_ii
                                        ; -- End function
	.section	.AMDGPU.csdata,"",@progbits
; Kernel info:
; codeLenInByte = 76
; NumSgprs: 36
; NumVgprs: 50
; ScratchSize: 64
; MemoryBound: 0
; FloatMode: 240
; IeeeMode: 1
; LDSByteSize: 0 bytes/workgroup (compile time only)
; SGPRBlocks: 4
; VGPRBlocks: 6
; NumSGPRsForWavesPerEU: 36
; NumVGPRsForWavesPerEU: 50
; Occupancy: 16
; WaveLimiterHint : 1
; COMPUTE_PGM_RSRC2:SCRATCH_EN: 1
; COMPUTE_PGM_RSRC2:USER_SGPR: 15
; COMPUTE_PGM_RSRC2:TRAP_HANDLER: 0
; COMPUTE_PGM_RSRC2:TGID_X_EN: 1
; COMPUTE_PGM_RSRC2:TGID_Y_EN: 0
; COMPUTE_PGM_RSRC2:TGID_Z_EN: 0
; COMPUTE_PGM_RSRC2:TIDIG_COMP_CNT: 0
	.section	.text._ZN5aiter32wv_splitk_small_fp16_bf16_kernelI14__hip_bfloat16Li64ELi1ELi1ELi8ELi4ELi3EEEviiPKT_S4_PS2_ii,"axG",@progbits,_ZN5aiter32wv_splitk_small_fp16_bf16_kernelI14__hip_bfloat16Li64ELi1ELi1ELi8ELi4ELi3EEEviiPKT_S4_PS2_ii,comdat
	.protected	_ZN5aiter32wv_splitk_small_fp16_bf16_kernelI14__hip_bfloat16Li64ELi1ELi1ELi8ELi4ELi3EEEviiPKT_S4_PS2_ii ; -- Begin function _ZN5aiter32wv_splitk_small_fp16_bf16_kernelI14__hip_bfloat16Li64ELi1ELi1ELi8ELi4ELi3EEEviiPKT_S4_PS2_ii
	.globl	_ZN5aiter32wv_splitk_small_fp16_bf16_kernelI14__hip_bfloat16Li64ELi1ELi1ELi8ELi4ELi3EEEviiPKT_S4_PS2_ii
	.p2align	8
	.type	_ZN5aiter32wv_splitk_small_fp16_bf16_kernelI14__hip_bfloat16Li64ELi1ELi1ELi8ELi4ELi3EEEviiPKT_S4_PS2_ii,@function
_ZN5aiter32wv_splitk_small_fp16_bf16_kernelI14__hip_bfloat16Li64ELi1ELi1ELi8ELi4ELi3EEEviiPKT_S4_PS2_ii: ; @_ZN5aiter32wv_splitk_small_fp16_bf16_kernelI14__hip_bfloat16Li64ELi1ELi1ELi8ELi4ELi3EEEviiPKT_S4_PS2_ii
; %bb.0:
	s_add_u32 s8, s0, 40
	s_addc_u32 s9, s1, 0
	s_getpc_b64 s[0:1]
	s_add_u32 s0, s0, __PRETTY_FUNCTION__._ZN5aiter32wv_splitk_small_fp16_bf16_kernelI14__hip_bfloat16Li64ELi1ELi1ELi8ELi4ELi3EEEviiPKT_S4_PS2_ii@rel32@lo+4
	s_addc_u32 s1, s1, __PRETTY_FUNCTION__._ZN5aiter32wv_splitk_small_fp16_bf16_kernelI14__hip_bfloat16Li64ELi1ELi1ELi8ELi4ELi3EEEviiPKT_S4_PS2_ii@rel32@hi+12
	v_dual_mov_b32 v0, 0x2a6 :: v_dual_mov_b32 v1, s0
	v_mov_b32_e32 v2, s1
	s_mov_b32 s32, 0
	s_getpc_b64 s[2:3]
	s_add_u32 s2, s2, __assert_fail@rel32@lo+4
	s_addc_u32 s3, s3, __assert_fail@rel32@hi+12
	s_delay_alu instid0(SALU_CYCLE_1)
	s_swappc_b64 s[30:31], s[2:3]
	.section	.rodata,"a",@progbits
	.p2align	6, 0x0
	.amdhsa_kernel _ZN5aiter32wv_splitk_small_fp16_bf16_kernelI14__hip_bfloat16Li64ELi1ELi1ELi8ELi4ELi3EEEviiPKT_S4_PS2_ii
		.amdhsa_group_segment_fixed_size 0
		.amdhsa_private_segment_fixed_size 64
		.amdhsa_kernarg_size 296
		.amdhsa_user_sgpr_count 15
		.amdhsa_user_sgpr_dispatch_ptr 0
		.amdhsa_user_sgpr_queue_ptr 0
		.amdhsa_user_sgpr_kernarg_segment_ptr 1
		.amdhsa_user_sgpr_dispatch_id 0
		.amdhsa_user_sgpr_private_segment_size 0
		.amdhsa_wavefront_size32 1
		.amdhsa_uses_dynamic_stack 0
		.amdhsa_enable_private_segment 1
		.amdhsa_system_sgpr_workgroup_id_x 1
		.amdhsa_system_sgpr_workgroup_id_y 0
		.amdhsa_system_sgpr_workgroup_id_z 0
		.amdhsa_system_sgpr_workgroup_info 0
		.amdhsa_system_vgpr_workitem_id 0
		.amdhsa_next_free_vgpr 50
		.amdhsa_next_free_sgpr 34
		.amdhsa_reserve_vcc 1
		.amdhsa_float_round_mode_32 0
		.amdhsa_float_round_mode_16_64 0
		.amdhsa_float_denorm_mode_32 3
		.amdhsa_float_denorm_mode_16_64 3
		.amdhsa_dx10_clamp 1
		.amdhsa_ieee_mode 1
		.amdhsa_fp16_overflow 0
		.amdhsa_workgroup_processor_mode 1
		.amdhsa_memory_ordered 1
		.amdhsa_forward_progress 0
		.amdhsa_shared_vgpr_count 0
		.amdhsa_exception_fp_ieee_invalid_op 0
		.amdhsa_exception_fp_denorm_src 0
		.amdhsa_exception_fp_ieee_div_zero 0
		.amdhsa_exception_fp_ieee_overflow 0
		.amdhsa_exception_fp_ieee_underflow 0
		.amdhsa_exception_fp_ieee_inexact 0
		.amdhsa_exception_int_div_zero 0
	.end_amdhsa_kernel
	.section	.text._ZN5aiter32wv_splitk_small_fp16_bf16_kernelI14__hip_bfloat16Li64ELi1ELi1ELi8ELi4ELi3EEEviiPKT_S4_PS2_ii,"axG",@progbits,_ZN5aiter32wv_splitk_small_fp16_bf16_kernelI14__hip_bfloat16Li64ELi1ELi1ELi8ELi4ELi3EEEviiPKT_S4_PS2_ii,comdat
.Lfunc_end30:
	.size	_ZN5aiter32wv_splitk_small_fp16_bf16_kernelI14__hip_bfloat16Li64ELi1ELi1ELi8ELi4ELi3EEEviiPKT_S4_PS2_ii, .Lfunc_end30-_ZN5aiter32wv_splitk_small_fp16_bf16_kernelI14__hip_bfloat16Li64ELi1ELi1ELi8ELi4ELi3EEEviiPKT_S4_PS2_ii
                                        ; -- End function
	.section	.AMDGPU.csdata,"",@progbits
; Kernel info:
; codeLenInByte = 76
; NumSgprs: 36
; NumVgprs: 50
; ScratchSize: 64
; MemoryBound: 0
; FloatMode: 240
; IeeeMode: 1
; LDSByteSize: 0 bytes/workgroup (compile time only)
; SGPRBlocks: 4
; VGPRBlocks: 6
; NumSGPRsForWavesPerEU: 36
; NumVGPRsForWavesPerEU: 50
; Occupancy: 16
; WaveLimiterHint : 1
; COMPUTE_PGM_RSRC2:SCRATCH_EN: 1
; COMPUTE_PGM_RSRC2:USER_SGPR: 15
; COMPUTE_PGM_RSRC2:TRAP_HANDLER: 0
; COMPUTE_PGM_RSRC2:TGID_X_EN: 1
; COMPUTE_PGM_RSRC2:TGID_Y_EN: 0
; COMPUTE_PGM_RSRC2:TGID_Z_EN: 0
; COMPUTE_PGM_RSRC2:TIDIG_COMP_CNT: 0
	.section	.text._ZN5aiter32wv_splitk_small_fp16_bf16_kernelI14__hip_bfloat16Li64ELi1ELi1ELi8ELi4ELi4EEEviiPKT_S4_PS2_ii,"axG",@progbits,_ZN5aiter32wv_splitk_small_fp16_bf16_kernelI14__hip_bfloat16Li64ELi1ELi1ELi8ELi4ELi4EEEviiPKT_S4_PS2_ii,comdat
	.protected	_ZN5aiter32wv_splitk_small_fp16_bf16_kernelI14__hip_bfloat16Li64ELi1ELi1ELi8ELi4ELi4EEEviiPKT_S4_PS2_ii ; -- Begin function _ZN5aiter32wv_splitk_small_fp16_bf16_kernelI14__hip_bfloat16Li64ELi1ELi1ELi8ELi4ELi4EEEviiPKT_S4_PS2_ii
	.globl	_ZN5aiter32wv_splitk_small_fp16_bf16_kernelI14__hip_bfloat16Li64ELi1ELi1ELi8ELi4ELi4EEEviiPKT_S4_PS2_ii
	.p2align	8
	.type	_ZN5aiter32wv_splitk_small_fp16_bf16_kernelI14__hip_bfloat16Li64ELi1ELi1ELi8ELi4ELi4EEEviiPKT_S4_PS2_ii,@function
_ZN5aiter32wv_splitk_small_fp16_bf16_kernelI14__hip_bfloat16Li64ELi1ELi1ELi8ELi4ELi4EEEviiPKT_S4_PS2_ii: ; @_ZN5aiter32wv_splitk_small_fp16_bf16_kernelI14__hip_bfloat16Li64ELi1ELi1ELi8ELi4ELi4EEEviiPKT_S4_PS2_ii
; %bb.0:
	s_add_u32 s8, s0, 40
	s_addc_u32 s9, s1, 0
	s_getpc_b64 s[0:1]
	s_add_u32 s0, s0, __PRETTY_FUNCTION__._ZN5aiter32wv_splitk_small_fp16_bf16_kernelI14__hip_bfloat16Li64ELi1ELi1ELi8ELi4ELi4EEEviiPKT_S4_PS2_ii@rel32@lo+4
	s_addc_u32 s1, s1, __PRETTY_FUNCTION__._ZN5aiter32wv_splitk_small_fp16_bf16_kernelI14__hip_bfloat16Li64ELi1ELi1ELi8ELi4ELi4EEEviiPKT_S4_PS2_ii@rel32@hi+12
	v_dual_mov_b32 v0, 0x2a6 :: v_dual_mov_b32 v1, s0
	v_mov_b32_e32 v2, s1
	s_mov_b32 s32, 0
	s_getpc_b64 s[2:3]
	s_add_u32 s2, s2, __assert_fail@rel32@lo+4
	s_addc_u32 s3, s3, __assert_fail@rel32@hi+12
	s_delay_alu instid0(SALU_CYCLE_1)
	s_swappc_b64 s[30:31], s[2:3]
	.section	.rodata,"a",@progbits
	.p2align	6, 0x0
	.amdhsa_kernel _ZN5aiter32wv_splitk_small_fp16_bf16_kernelI14__hip_bfloat16Li64ELi1ELi1ELi8ELi4ELi4EEEviiPKT_S4_PS2_ii
		.amdhsa_group_segment_fixed_size 0
		.amdhsa_private_segment_fixed_size 64
		.amdhsa_kernarg_size 296
		.amdhsa_user_sgpr_count 15
		.amdhsa_user_sgpr_dispatch_ptr 0
		.amdhsa_user_sgpr_queue_ptr 0
		.amdhsa_user_sgpr_kernarg_segment_ptr 1
		.amdhsa_user_sgpr_dispatch_id 0
		.amdhsa_user_sgpr_private_segment_size 0
		.amdhsa_wavefront_size32 1
		.amdhsa_uses_dynamic_stack 0
		.amdhsa_enable_private_segment 1
		.amdhsa_system_sgpr_workgroup_id_x 1
		.amdhsa_system_sgpr_workgroup_id_y 0
		.amdhsa_system_sgpr_workgroup_id_z 0
		.amdhsa_system_sgpr_workgroup_info 0
		.amdhsa_system_vgpr_workitem_id 0
		.amdhsa_next_free_vgpr 50
		.amdhsa_next_free_sgpr 34
		.amdhsa_reserve_vcc 1
		.amdhsa_float_round_mode_32 0
		.amdhsa_float_round_mode_16_64 0
		.amdhsa_float_denorm_mode_32 3
		.amdhsa_float_denorm_mode_16_64 3
		.amdhsa_dx10_clamp 1
		.amdhsa_ieee_mode 1
		.amdhsa_fp16_overflow 0
		.amdhsa_workgroup_processor_mode 1
		.amdhsa_memory_ordered 1
		.amdhsa_forward_progress 0
		.amdhsa_shared_vgpr_count 0
		.amdhsa_exception_fp_ieee_invalid_op 0
		.amdhsa_exception_fp_denorm_src 0
		.amdhsa_exception_fp_ieee_div_zero 0
		.amdhsa_exception_fp_ieee_overflow 0
		.amdhsa_exception_fp_ieee_underflow 0
		.amdhsa_exception_fp_ieee_inexact 0
		.amdhsa_exception_int_div_zero 0
	.end_amdhsa_kernel
	.section	.text._ZN5aiter32wv_splitk_small_fp16_bf16_kernelI14__hip_bfloat16Li64ELi1ELi1ELi8ELi4ELi4EEEviiPKT_S4_PS2_ii,"axG",@progbits,_ZN5aiter32wv_splitk_small_fp16_bf16_kernelI14__hip_bfloat16Li64ELi1ELi1ELi8ELi4ELi4EEEviiPKT_S4_PS2_ii,comdat
.Lfunc_end31:
	.size	_ZN5aiter32wv_splitk_small_fp16_bf16_kernelI14__hip_bfloat16Li64ELi1ELi1ELi8ELi4ELi4EEEviiPKT_S4_PS2_ii, .Lfunc_end31-_ZN5aiter32wv_splitk_small_fp16_bf16_kernelI14__hip_bfloat16Li64ELi1ELi1ELi8ELi4ELi4EEEviiPKT_S4_PS2_ii
                                        ; -- End function
	.section	.AMDGPU.csdata,"",@progbits
; Kernel info:
; codeLenInByte = 76
; NumSgprs: 36
; NumVgprs: 50
; ScratchSize: 64
; MemoryBound: 0
; FloatMode: 240
; IeeeMode: 1
; LDSByteSize: 0 bytes/workgroup (compile time only)
; SGPRBlocks: 4
; VGPRBlocks: 6
; NumSGPRsForWavesPerEU: 36
; NumVGPRsForWavesPerEU: 50
; Occupancy: 16
; WaveLimiterHint : 1
; COMPUTE_PGM_RSRC2:SCRATCH_EN: 1
; COMPUTE_PGM_RSRC2:USER_SGPR: 15
; COMPUTE_PGM_RSRC2:TRAP_HANDLER: 0
; COMPUTE_PGM_RSRC2:TGID_X_EN: 1
; COMPUTE_PGM_RSRC2:TGID_Y_EN: 0
; COMPUTE_PGM_RSRC2:TGID_Z_EN: 0
; COMPUTE_PGM_RSRC2:TIDIG_COMP_CNT: 0
	.section	.text._ZN5aiter32wv_splitk_small_fp16_bf16_kernelI14__hip_bfloat16Li64ELi1ELi1ELi8ELi4ELi5EEEviiPKT_S4_PS2_ii,"axG",@progbits,_ZN5aiter32wv_splitk_small_fp16_bf16_kernelI14__hip_bfloat16Li64ELi1ELi1ELi8ELi4ELi5EEEviiPKT_S4_PS2_ii,comdat
	.protected	_ZN5aiter32wv_splitk_small_fp16_bf16_kernelI14__hip_bfloat16Li64ELi1ELi1ELi8ELi4ELi5EEEviiPKT_S4_PS2_ii ; -- Begin function _ZN5aiter32wv_splitk_small_fp16_bf16_kernelI14__hip_bfloat16Li64ELi1ELi1ELi8ELi4ELi5EEEviiPKT_S4_PS2_ii
	.globl	_ZN5aiter32wv_splitk_small_fp16_bf16_kernelI14__hip_bfloat16Li64ELi1ELi1ELi8ELi4ELi5EEEviiPKT_S4_PS2_ii
	.p2align	8
	.type	_ZN5aiter32wv_splitk_small_fp16_bf16_kernelI14__hip_bfloat16Li64ELi1ELi1ELi8ELi4ELi5EEEviiPKT_S4_PS2_ii,@function
_ZN5aiter32wv_splitk_small_fp16_bf16_kernelI14__hip_bfloat16Li64ELi1ELi1ELi8ELi4ELi5EEEviiPKT_S4_PS2_ii: ; @_ZN5aiter32wv_splitk_small_fp16_bf16_kernelI14__hip_bfloat16Li64ELi1ELi1ELi8ELi4ELi5EEEviiPKT_S4_PS2_ii
; %bb.0:
	s_add_u32 s8, s0, 40
	s_addc_u32 s9, s1, 0
	s_getpc_b64 s[0:1]
	s_add_u32 s0, s0, __PRETTY_FUNCTION__._ZN5aiter32wv_splitk_small_fp16_bf16_kernelI14__hip_bfloat16Li64ELi1ELi1ELi8ELi4ELi5EEEviiPKT_S4_PS2_ii@rel32@lo+4
	s_addc_u32 s1, s1, __PRETTY_FUNCTION__._ZN5aiter32wv_splitk_small_fp16_bf16_kernelI14__hip_bfloat16Li64ELi1ELi1ELi8ELi4ELi5EEEviiPKT_S4_PS2_ii@rel32@hi+12
	v_dual_mov_b32 v0, 0x2a6 :: v_dual_mov_b32 v1, s0
	v_mov_b32_e32 v2, s1
	s_mov_b32 s32, 0
	s_getpc_b64 s[2:3]
	s_add_u32 s2, s2, __assert_fail@rel32@lo+4
	s_addc_u32 s3, s3, __assert_fail@rel32@hi+12
	s_delay_alu instid0(SALU_CYCLE_1)
	s_swappc_b64 s[30:31], s[2:3]
	.section	.rodata,"a",@progbits
	.p2align	6, 0x0
	.amdhsa_kernel _ZN5aiter32wv_splitk_small_fp16_bf16_kernelI14__hip_bfloat16Li64ELi1ELi1ELi8ELi4ELi5EEEviiPKT_S4_PS2_ii
		.amdhsa_group_segment_fixed_size 0
		.amdhsa_private_segment_fixed_size 64
		.amdhsa_kernarg_size 296
		.amdhsa_user_sgpr_count 15
		.amdhsa_user_sgpr_dispatch_ptr 0
		.amdhsa_user_sgpr_queue_ptr 0
		.amdhsa_user_sgpr_kernarg_segment_ptr 1
		.amdhsa_user_sgpr_dispatch_id 0
		.amdhsa_user_sgpr_private_segment_size 0
		.amdhsa_wavefront_size32 1
		.amdhsa_uses_dynamic_stack 0
		.amdhsa_enable_private_segment 1
		.amdhsa_system_sgpr_workgroup_id_x 1
		.amdhsa_system_sgpr_workgroup_id_y 0
		.amdhsa_system_sgpr_workgroup_id_z 0
		.amdhsa_system_sgpr_workgroup_info 0
		.amdhsa_system_vgpr_workitem_id 0
		.amdhsa_next_free_vgpr 50
		.amdhsa_next_free_sgpr 34
		.amdhsa_reserve_vcc 1
		.amdhsa_float_round_mode_32 0
		.amdhsa_float_round_mode_16_64 0
		.amdhsa_float_denorm_mode_32 3
		.amdhsa_float_denorm_mode_16_64 3
		.amdhsa_dx10_clamp 1
		.amdhsa_ieee_mode 1
		.amdhsa_fp16_overflow 0
		.amdhsa_workgroup_processor_mode 1
		.amdhsa_memory_ordered 1
		.amdhsa_forward_progress 0
		.amdhsa_shared_vgpr_count 0
		.amdhsa_exception_fp_ieee_invalid_op 0
		.amdhsa_exception_fp_denorm_src 0
		.amdhsa_exception_fp_ieee_div_zero 0
		.amdhsa_exception_fp_ieee_overflow 0
		.amdhsa_exception_fp_ieee_underflow 0
		.amdhsa_exception_fp_ieee_inexact 0
		.amdhsa_exception_int_div_zero 0
	.end_amdhsa_kernel
	.section	.text._ZN5aiter32wv_splitk_small_fp16_bf16_kernelI14__hip_bfloat16Li64ELi1ELi1ELi8ELi4ELi5EEEviiPKT_S4_PS2_ii,"axG",@progbits,_ZN5aiter32wv_splitk_small_fp16_bf16_kernelI14__hip_bfloat16Li64ELi1ELi1ELi8ELi4ELi5EEEviiPKT_S4_PS2_ii,comdat
.Lfunc_end32:
	.size	_ZN5aiter32wv_splitk_small_fp16_bf16_kernelI14__hip_bfloat16Li64ELi1ELi1ELi8ELi4ELi5EEEviiPKT_S4_PS2_ii, .Lfunc_end32-_ZN5aiter32wv_splitk_small_fp16_bf16_kernelI14__hip_bfloat16Li64ELi1ELi1ELi8ELi4ELi5EEEviiPKT_S4_PS2_ii
                                        ; -- End function
	.section	.AMDGPU.csdata,"",@progbits
; Kernel info:
; codeLenInByte = 76
; NumSgprs: 36
; NumVgprs: 50
; ScratchSize: 64
; MemoryBound: 0
; FloatMode: 240
; IeeeMode: 1
; LDSByteSize: 0 bytes/workgroup (compile time only)
; SGPRBlocks: 4
; VGPRBlocks: 6
; NumSGPRsForWavesPerEU: 36
; NumVGPRsForWavesPerEU: 50
; Occupancy: 16
; WaveLimiterHint : 1
; COMPUTE_PGM_RSRC2:SCRATCH_EN: 1
; COMPUTE_PGM_RSRC2:USER_SGPR: 15
; COMPUTE_PGM_RSRC2:TRAP_HANDLER: 0
; COMPUTE_PGM_RSRC2:TGID_X_EN: 1
; COMPUTE_PGM_RSRC2:TGID_Y_EN: 0
; COMPUTE_PGM_RSRC2:TGID_Z_EN: 0
; COMPUTE_PGM_RSRC2:TIDIG_COMP_CNT: 0
	.section	.text._ZN5aiter32wv_splitk_small_fp16_bf16_kernelI14__hip_bfloat16Li64ELi1ELi1ELi8ELi4ELi6EEEviiPKT_S4_PS2_ii,"axG",@progbits,_ZN5aiter32wv_splitk_small_fp16_bf16_kernelI14__hip_bfloat16Li64ELi1ELi1ELi8ELi4ELi6EEEviiPKT_S4_PS2_ii,comdat
	.protected	_ZN5aiter32wv_splitk_small_fp16_bf16_kernelI14__hip_bfloat16Li64ELi1ELi1ELi8ELi4ELi6EEEviiPKT_S4_PS2_ii ; -- Begin function _ZN5aiter32wv_splitk_small_fp16_bf16_kernelI14__hip_bfloat16Li64ELi1ELi1ELi8ELi4ELi6EEEviiPKT_S4_PS2_ii
	.globl	_ZN5aiter32wv_splitk_small_fp16_bf16_kernelI14__hip_bfloat16Li64ELi1ELi1ELi8ELi4ELi6EEEviiPKT_S4_PS2_ii
	.p2align	8
	.type	_ZN5aiter32wv_splitk_small_fp16_bf16_kernelI14__hip_bfloat16Li64ELi1ELi1ELi8ELi4ELi6EEEviiPKT_S4_PS2_ii,@function
_ZN5aiter32wv_splitk_small_fp16_bf16_kernelI14__hip_bfloat16Li64ELi1ELi1ELi8ELi4ELi6EEEviiPKT_S4_PS2_ii: ; @_ZN5aiter32wv_splitk_small_fp16_bf16_kernelI14__hip_bfloat16Li64ELi1ELi1ELi8ELi4ELi6EEEviiPKT_S4_PS2_ii
; %bb.0:
	s_add_u32 s8, s0, 40
	s_addc_u32 s9, s1, 0
	s_getpc_b64 s[0:1]
	s_add_u32 s0, s0, __PRETTY_FUNCTION__._ZN5aiter32wv_splitk_small_fp16_bf16_kernelI14__hip_bfloat16Li64ELi1ELi1ELi8ELi4ELi6EEEviiPKT_S4_PS2_ii@rel32@lo+4
	s_addc_u32 s1, s1, __PRETTY_FUNCTION__._ZN5aiter32wv_splitk_small_fp16_bf16_kernelI14__hip_bfloat16Li64ELi1ELi1ELi8ELi4ELi6EEEviiPKT_S4_PS2_ii@rel32@hi+12
	v_dual_mov_b32 v0, 0x2a6 :: v_dual_mov_b32 v1, s0
	v_mov_b32_e32 v2, s1
	s_mov_b32 s32, 0
	s_getpc_b64 s[2:3]
	s_add_u32 s2, s2, __assert_fail@rel32@lo+4
	s_addc_u32 s3, s3, __assert_fail@rel32@hi+12
	s_delay_alu instid0(SALU_CYCLE_1)
	s_swappc_b64 s[30:31], s[2:3]
	.section	.rodata,"a",@progbits
	.p2align	6, 0x0
	.amdhsa_kernel _ZN5aiter32wv_splitk_small_fp16_bf16_kernelI14__hip_bfloat16Li64ELi1ELi1ELi8ELi4ELi6EEEviiPKT_S4_PS2_ii
		.amdhsa_group_segment_fixed_size 0
		.amdhsa_private_segment_fixed_size 64
		.amdhsa_kernarg_size 296
		.amdhsa_user_sgpr_count 15
		.amdhsa_user_sgpr_dispatch_ptr 0
		.amdhsa_user_sgpr_queue_ptr 0
		.amdhsa_user_sgpr_kernarg_segment_ptr 1
		.amdhsa_user_sgpr_dispatch_id 0
		.amdhsa_user_sgpr_private_segment_size 0
		.amdhsa_wavefront_size32 1
		.amdhsa_uses_dynamic_stack 0
		.amdhsa_enable_private_segment 1
		.amdhsa_system_sgpr_workgroup_id_x 1
		.amdhsa_system_sgpr_workgroup_id_y 0
		.amdhsa_system_sgpr_workgroup_id_z 0
		.amdhsa_system_sgpr_workgroup_info 0
		.amdhsa_system_vgpr_workitem_id 0
		.amdhsa_next_free_vgpr 50
		.amdhsa_next_free_sgpr 34
		.amdhsa_reserve_vcc 1
		.amdhsa_float_round_mode_32 0
		.amdhsa_float_round_mode_16_64 0
		.amdhsa_float_denorm_mode_32 3
		.amdhsa_float_denorm_mode_16_64 3
		.amdhsa_dx10_clamp 1
		.amdhsa_ieee_mode 1
		.amdhsa_fp16_overflow 0
		.amdhsa_workgroup_processor_mode 1
		.amdhsa_memory_ordered 1
		.amdhsa_forward_progress 0
		.amdhsa_shared_vgpr_count 0
		.amdhsa_exception_fp_ieee_invalid_op 0
		.amdhsa_exception_fp_denorm_src 0
		.amdhsa_exception_fp_ieee_div_zero 0
		.amdhsa_exception_fp_ieee_overflow 0
		.amdhsa_exception_fp_ieee_underflow 0
		.amdhsa_exception_fp_ieee_inexact 0
		.amdhsa_exception_int_div_zero 0
	.end_amdhsa_kernel
	.section	.text._ZN5aiter32wv_splitk_small_fp16_bf16_kernelI14__hip_bfloat16Li64ELi1ELi1ELi8ELi4ELi6EEEviiPKT_S4_PS2_ii,"axG",@progbits,_ZN5aiter32wv_splitk_small_fp16_bf16_kernelI14__hip_bfloat16Li64ELi1ELi1ELi8ELi4ELi6EEEviiPKT_S4_PS2_ii,comdat
.Lfunc_end33:
	.size	_ZN5aiter32wv_splitk_small_fp16_bf16_kernelI14__hip_bfloat16Li64ELi1ELi1ELi8ELi4ELi6EEEviiPKT_S4_PS2_ii, .Lfunc_end33-_ZN5aiter32wv_splitk_small_fp16_bf16_kernelI14__hip_bfloat16Li64ELi1ELi1ELi8ELi4ELi6EEEviiPKT_S4_PS2_ii
                                        ; -- End function
	.section	.AMDGPU.csdata,"",@progbits
; Kernel info:
; codeLenInByte = 76
; NumSgprs: 36
; NumVgprs: 50
; ScratchSize: 64
; MemoryBound: 0
; FloatMode: 240
; IeeeMode: 1
; LDSByteSize: 0 bytes/workgroup (compile time only)
; SGPRBlocks: 4
; VGPRBlocks: 6
; NumSGPRsForWavesPerEU: 36
; NumVGPRsForWavesPerEU: 50
; Occupancy: 16
; WaveLimiterHint : 1
; COMPUTE_PGM_RSRC2:SCRATCH_EN: 1
; COMPUTE_PGM_RSRC2:USER_SGPR: 15
; COMPUTE_PGM_RSRC2:TRAP_HANDLER: 0
; COMPUTE_PGM_RSRC2:TGID_X_EN: 1
; COMPUTE_PGM_RSRC2:TGID_Y_EN: 0
; COMPUTE_PGM_RSRC2:TGID_Z_EN: 0
; COMPUTE_PGM_RSRC2:TIDIG_COMP_CNT: 0
	.section	.text._ZN5aiter32wv_splitk_small_fp16_bf16_kernelI14__hip_bfloat16Li64ELi1ELi1ELi8ELi4ELi7EEEviiPKT_S4_PS2_ii,"axG",@progbits,_ZN5aiter32wv_splitk_small_fp16_bf16_kernelI14__hip_bfloat16Li64ELi1ELi1ELi8ELi4ELi7EEEviiPKT_S4_PS2_ii,comdat
	.protected	_ZN5aiter32wv_splitk_small_fp16_bf16_kernelI14__hip_bfloat16Li64ELi1ELi1ELi8ELi4ELi7EEEviiPKT_S4_PS2_ii ; -- Begin function _ZN5aiter32wv_splitk_small_fp16_bf16_kernelI14__hip_bfloat16Li64ELi1ELi1ELi8ELi4ELi7EEEviiPKT_S4_PS2_ii
	.globl	_ZN5aiter32wv_splitk_small_fp16_bf16_kernelI14__hip_bfloat16Li64ELi1ELi1ELi8ELi4ELi7EEEviiPKT_S4_PS2_ii
	.p2align	8
	.type	_ZN5aiter32wv_splitk_small_fp16_bf16_kernelI14__hip_bfloat16Li64ELi1ELi1ELi8ELi4ELi7EEEviiPKT_S4_PS2_ii,@function
_ZN5aiter32wv_splitk_small_fp16_bf16_kernelI14__hip_bfloat16Li64ELi1ELi1ELi8ELi4ELi7EEEviiPKT_S4_PS2_ii: ; @_ZN5aiter32wv_splitk_small_fp16_bf16_kernelI14__hip_bfloat16Li64ELi1ELi1ELi8ELi4ELi7EEEviiPKT_S4_PS2_ii
; %bb.0:
	s_add_u32 s8, s0, 40
	s_addc_u32 s9, s1, 0
	s_getpc_b64 s[0:1]
	s_add_u32 s0, s0, __PRETTY_FUNCTION__._ZN5aiter32wv_splitk_small_fp16_bf16_kernelI14__hip_bfloat16Li64ELi1ELi1ELi8ELi4ELi7EEEviiPKT_S4_PS2_ii@rel32@lo+4
	s_addc_u32 s1, s1, __PRETTY_FUNCTION__._ZN5aiter32wv_splitk_small_fp16_bf16_kernelI14__hip_bfloat16Li64ELi1ELi1ELi8ELi4ELi7EEEviiPKT_S4_PS2_ii@rel32@hi+12
	v_dual_mov_b32 v0, 0x2a6 :: v_dual_mov_b32 v1, s0
	v_mov_b32_e32 v2, s1
	s_mov_b32 s32, 0
	s_getpc_b64 s[2:3]
	s_add_u32 s2, s2, __assert_fail@rel32@lo+4
	s_addc_u32 s3, s3, __assert_fail@rel32@hi+12
	s_delay_alu instid0(SALU_CYCLE_1)
	s_swappc_b64 s[30:31], s[2:3]
	.section	.rodata,"a",@progbits
	.p2align	6, 0x0
	.amdhsa_kernel _ZN5aiter32wv_splitk_small_fp16_bf16_kernelI14__hip_bfloat16Li64ELi1ELi1ELi8ELi4ELi7EEEviiPKT_S4_PS2_ii
		.amdhsa_group_segment_fixed_size 0
		.amdhsa_private_segment_fixed_size 64
		.amdhsa_kernarg_size 296
		.amdhsa_user_sgpr_count 15
		.amdhsa_user_sgpr_dispatch_ptr 0
		.amdhsa_user_sgpr_queue_ptr 0
		.amdhsa_user_sgpr_kernarg_segment_ptr 1
		.amdhsa_user_sgpr_dispatch_id 0
		.amdhsa_user_sgpr_private_segment_size 0
		.amdhsa_wavefront_size32 1
		.amdhsa_uses_dynamic_stack 0
		.amdhsa_enable_private_segment 1
		.amdhsa_system_sgpr_workgroup_id_x 1
		.amdhsa_system_sgpr_workgroup_id_y 0
		.amdhsa_system_sgpr_workgroup_id_z 0
		.amdhsa_system_sgpr_workgroup_info 0
		.amdhsa_system_vgpr_workitem_id 0
		.amdhsa_next_free_vgpr 50
		.amdhsa_next_free_sgpr 34
		.amdhsa_reserve_vcc 1
		.amdhsa_float_round_mode_32 0
		.amdhsa_float_round_mode_16_64 0
		.amdhsa_float_denorm_mode_32 3
		.amdhsa_float_denorm_mode_16_64 3
		.amdhsa_dx10_clamp 1
		.amdhsa_ieee_mode 1
		.amdhsa_fp16_overflow 0
		.amdhsa_workgroup_processor_mode 1
		.amdhsa_memory_ordered 1
		.amdhsa_forward_progress 0
		.amdhsa_shared_vgpr_count 0
		.amdhsa_exception_fp_ieee_invalid_op 0
		.amdhsa_exception_fp_denorm_src 0
		.amdhsa_exception_fp_ieee_div_zero 0
		.amdhsa_exception_fp_ieee_overflow 0
		.amdhsa_exception_fp_ieee_underflow 0
		.amdhsa_exception_fp_ieee_inexact 0
		.amdhsa_exception_int_div_zero 0
	.end_amdhsa_kernel
	.section	.text._ZN5aiter32wv_splitk_small_fp16_bf16_kernelI14__hip_bfloat16Li64ELi1ELi1ELi8ELi4ELi7EEEviiPKT_S4_PS2_ii,"axG",@progbits,_ZN5aiter32wv_splitk_small_fp16_bf16_kernelI14__hip_bfloat16Li64ELi1ELi1ELi8ELi4ELi7EEEviiPKT_S4_PS2_ii,comdat
.Lfunc_end34:
	.size	_ZN5aiter32wv_splitk_small_fp16_bf16_kernelI14__hip_bfloat16Li64ELi1ELi1ELi8ELi4ELi7EEEviiPKT_S4_PS2_ii, .Lfunc_end34-_ZN5aiter32wv_splitk_small_fp16_bf16_kernelI14__hip_bfloat16Li64ELi1ELi1ELi8ELi4ELi7EEEviiPKT_S4_PS2_ii
                                        ; -- End function
	.section	.AMDGPU.csdata,"",@progbits
; Kernel info:
; codeLenInByte = 76
; NumSgprs: 36
; NumVgprs: 50
; ScratchSize: 64
; MemoryBound: 0
; FloatMode: 240
; IeeeMode: 1
; LDSByteSize: 0 bytes/workgroup (compile time only)
; SGPRBlocks: 4
; VGPRBlocks: 6
; NumSGPRsForWavesPerEU: 36
; NumVGPRsForWavesPerEU: 50
; Occupancy: 16
; WaveLimiterHint : 1
; COMPUTE_PGM_RSRC2:SCRATCH_EN: 1
; COMPUTE_PGM_RSRC2:USER_SGPR: 15
; COMPUTE_PGM_RSRC2:TRAP_HANDLER: 0
; COMPUTE_PGM_RSRC2:TGID_X_EN: 1
; COMPUTE_PGM_RSRC2:TGID_Y_EN: 0
; COMPUTE_PGM_RSRC2:TGID_Z_EN: 0
; COMPUTE_PGM_RSRC2:TIDIG_COMP_CNT: 0
	.section	.text._ZN5aiter32wv_splitk_small_fp16_bf16_kernelI14__hip_bfloat16Li64ELi1ELi1ELi8ELi4ELi8EEEviiPKT_S4_PS2_ii,"axG",@progbits,_ZN5aiter32wv_splitk_small_fp16_bf16_kernelI14__hip_bfloat16Li64ELi1ELi1ELi8ELi4ELi8EEEviiPKT_S4_PS2_ii,comdat
	.protected	_ZN5aiter32wv_splitk_small_fp16_bf16_kernelI14__hip_bfloat16Li64ELi1ELi1ELi8ELi4ELi8EEEviiPKT_S4_PS2_ii ; -- Begin function _ZN5aiter32wv_splitk_small_fp16_bf16_kernelI14__hip_bfloat16Li64ELi1ELi1ELi8ELi4ELi8EEEviiPKT_S4_PS2_ii
	.globl	_ZN5aiter32wv_splitk_small_fp16_bf16_kernelI14__hip_bfloat16Li64ELi1ELi1ELi8ELi4ELi8EEEviiPKT_S4_PS2_ii
	.p2align	8
	.type	_ZN5aiter32wv_splitk_small_fp16_bf16_kernelI14__hip_bfloat16Li64ELi1ELi1ELi8ELi4ELi8EEEviiPKT_S4_PS2_ii,@function
_ZN5aiter32wv_splitk_small_fp16_bf16_kernelI14__hip_bfloat16Li64ELi1ELi1ELi8ELi4ELi8EEEviiPKT_S4_PS2_ii: ; @_ZN5aiter32wv_splitk_small_fp16_bf16_kernelI14__hip_bfloat16Li64ELi1ELi1ELi8ELi4ELi8EEEviiPKT_S4_PS2_ii
; %bb.0:
	s_add_u32 s8, s0, 40
	s_addc_u32 s9, s1, 0
	s_getpc_b64 s[0:1]
	s_add_u32 s0, s0, __PRETTY_FUNCTION__._ZN5aiter32wv_splitk_small_fp16_bf16_kernelI14__hip_bfloat16Li64ELi1ELi1ELi8ELi4ELi8EEEviiPKT_S4_PS2_ii@rel32@lo+4
	s_addc_u32 s1, s1, __PRETTY_FUNCTION__._ZN5aiter32wv_splitk_small_fp16_bf16_kernelI14__hip_bfloat16Li64ELi1ELi1ELi8ELi4ELi8EEEviiPKT_S4_PS2_ii@rel32@hi+12
	v_dual_mov_b32 v0, 0x2a6 :: v_dual_mov_b32 v1, s0
	v_mov_b32_e32 v2, s1
	s_mov_b32 s32, 0
	s_getpc_b64 s[2:3]
	s_add_u32 s2, s2, __assert_fail@rel32@lo+4
	s_addc_u32 s3, s3, __assert_fail@rel32@hi+12
	s_delay_alu instid0(SALU_CYCLE_1)
	s_swappc_b64 s[30:31], s[2:3]
	.section	.rodata,"a",@progbits
	.p2align	6, 0x0
	.amdhsa_kernel _ZN5aiter32wv_splitk_small_fp16_bf16_kernelI14__hip_bfloat16Li64ELi1ELi1ELi8ELi4ELi8EEEviiPKT_S4_PS2_ii
		.amdhsa_group_segment_fixed_size 0
		.amdhsa_private_segment_fixed_size 64
		.amdhsa_kernarg_size 296
		.amdhsa_user_sgpr_count 15
		.amdhsa_user_sgpr_dispatch_ptr 0
		.amdhsa_user_sgpr_queue_ptr 0
		.amdhsa_user_sgpr_kernarg_segment_ptr 1
		.amdhsa_user_sgpr_dispatch_id 0
		.amdhsa_user_sgpr_private_segment_size 0
		.amdhsa_wavefront_size32 1
		.amdhsa_uses_dynamic_stack 0
		.amdhsa_enable_private_segment 1
		.amdhsa_system_sgpr_workgroup_id_x 1
		.amdhsa_system_sgpr_workgroup_id_y 0
		.amdhsa_system_sgpr_workgroup_id_z 0
		.amdhsa_system_sgpr_workgroup_info 0
		.amdhsa_system_vgpr_workitem_id 0
		.amdhsa_next_free_vgpr 50
		.amdhsa_next_free_sgpr 34
		.amdhsa_reserve_vcc 1
		.amdhsa_float_round_mode_32 0
		.amdhsa_float_round_mode_16_64 0
		.amdhsa_float_denorm_mode_32 3
		.amdhsa_float_denorm_mode_16_64 3
		.amdhsa_dx10_clamp 1
		.amdhsa_ieee_mode 1
		.amdhsa_fp16_overflow 0
		.amdhsa_workgroup_processor_mode 1
		.amdhsa_memory_ordered 1
		.amdhsa_forward_progress 0
		.amdhsa_shared_vgpr_count 0
		.amdhsa_exception_fp_ieee_invalid_op 0
		.amdhsa_exception_fp_denorm_src 0
		.amdhsa_exception_fp_ieee_div_zero 0
		.amdhsa_exception_fp_ieee_overflow 0
		.amdhsa_exception_fp_ieee_underflow 0
		.amdhsa_exception_fp_ieee_inexact 0
		.amdhsa_exception_int_div_zero 0
	.end_amdhsa_kernel
	.section	.text._ZN5aiter32wv_splitk_small_fp16_bf16_kernelI14__hip_bfloat16Li64ELi1ELi1ELi8ELi4ELi8EEEviiPKT_S4_PS2_ii,"axG",@progbits,_ZN5aiter32wv_splitk_small_fp16_bf16_kernelI14__hip_bfloat16Li64ELi1ELi1ELi8ELi4ELi8EEEviiPKT_S4_PS2_ii,comdat
.Lfunc_end35:
	.size	_ZN5aiter32wv_splitk_small_fp16_bf16_kernelI14__hip_bfloat16Li64ELi1ELi1ELi8ELi4ELi8EEEviiPKT_S4_PS2_ii, .Lfunc_end35-_ZN5aiter32wv_splitk_small_fp16_bf16_kernelI14__hip_bfloat16Li64ELi1ELi1ELi8ELi4ELi8EEEviiPKT_S4_PS2_ii
                                        ; -- End function
	.section	.AMDGPU.csdata,"",@progbits
; Kernel info:
; codeLenInByte = 76
; NumSgprs: 36
; NumVgprs: 50
; ScratchSize: 64
; MemoryBound: 0
; FloatMode: 240
; IeeeMode: 1
; LDSByteSize: 0 bytes/workgroup (compile time only)
; SGPRBlocks: 4
; VGPRBlocks: 6
; NumSGPRsForWavesPerEU: 36
; NumVGPRsForWavesPerEU: 50
; Occupancy: 16
; WaveLimiterHint : 1
; COMPUTE_PGM_RSRC2:SCRATCH_EN: 1
; COMPUTE_PGM_RSRC2:USER_SGPR: 15
; COMPUTE_PGM_RSRC2:TRAP_HANDLER: 0
; COMPUTE_PGM_RSRC2:TGID_X_EN: 1
; COMPUTE_PGM_RSRC2:TGID_Y_EN: 0
; COMPUTE_PGM_RSRC2:TGID_Z_EN: 0
; COMPUTE_PGM_RSRC2:TIDIG_COMP_CNT: 0
	.section	.text._ZN5aiter32wv_splitk_small_fp16_bf16_kernelI14__hip_bfloat16Li64ELi1ELi1ELi8ELi4ELi9EEEviiPKT_S4_PS2_ii,"axG",@progbits,_ZN5aiter32wv_splitk_small_fp16_bf16_kernelI14__hip_bfloat16Li64ELi1ELi1ELi8ELi4ELi9EEEviiPKT_S4_PS2_ii,comdat
	.protected	_ZN5aiter32wv_splitk_small_fp16_bf16_kernelI14__hip_bfloat16Li64ELi1ELi1ELi8ELi4ELi9EEEviiPKT_S4_PS2_ii ; -- Begin function _ZN5aiter32wv_splitk_small_fp16_bf16_kernelI14__hip_bfloat16Li64ELi1ELi1ELi8ELi4ELi9EEEviiPKT_S4_PS2_ii
	.globl	_ZN5aiter32wv_splitk_small_fp16_bf16_kernelI14__hip_bfloat16Li64ELi1ELi1ELi8ELi4ELi9EEEviiPKT_S4_PS2_ii
	.p2align	8
	.type	_ZN5aiter32wv_splitk_small_fp16_bf16_kernelI14__hip_bfloat16Li64ELi1ELi1ELi8ELi4ELi9EEEviiPKT_S4_PS2_ii,@function
_ZN5aiter32wv_splitk_small_fp16_bf16_kernelI14__hip_bfloat16Li64ELi1ELi1ELi8ELi4ELi9EEEviiPKT_S4_PS2_ii: ; @_ZN5aiter32wv_splitk_small_fp16_bf16_kernelI14__hip_bfloat16Li64ELi1ELi1ELi8ELi4ELi9EEEviiPKT_S4_PS2_ii
; %bb.0:
	s_add_u32 s8, s0, 40
	s_addc_u32 s9, s1, 0
	s_getpc_b64 s[0:1]
	s_add_u32 s0, s0, __PRETTY_FUNCTION__._ZN5aiter32wv_splitk_small_fp16_bf16_kernelI14__hip_bfloat16Li64ELi1ELi1ELi8ELi4ELi9EEEviiPKT_S4_PS2_ii@rel32@lo+4
	s_addc_u32 s1, s1, __PRETTY_FUNCTION__._ZN5aiter32wv_splitk_small_fp16_bf16_kernelI14__hip_bfloat16Li64ELi1ELi1ELi8ELi4ELi9EEEviiPKT_S4_PS2_ii@rel32@hi+12
	v_dual_mov_b32 v0, 0x2a6 :: v_dual_mov_b32 v1, s0
	v_mov_b32_e32 v2, s1
	s_mov_b32 s32, 0
	s_getpc_b64 s[2:3]
	s_add_u32 s2, s2, __assert_fail@rel32@lo+4
	s_addc_u32 s3, s3, __assert_fail@rel32@hi+12
	s_delay_alu instid0(SALU_CYCLE_1)
	s_swappc_b64 s[30:31], s[2:3]
	.section	.rodata,"a",@progbits
	.p2align	6, 0x0
	.amdhsa_kernel _ZN5aiter32wv_splitk_small_fp16_bf16_kernelI14__hip_bfloat16Li64ELi1ELi1ELi8ELi4ELi9EEEviiPKT_S4_PS2_ii
		.amdhsa_group_segment_fixed_size 0
		.amdhsa_private_segment_fixed_size 64
		.amdhsa_kernarg_size 296
		.amdhsa_user_sgpr_count 15
		.amdhsa_user_sgpr_dispatch_ptr 0
		.amdhsa_user_sgpr_queue_ptr 0
		.amdhsa_user_sgpr_kernarg_segment_ptr 1
		.amdhsa_user_sgpr_dispatch_id 0
		.amdhsa_user_sgpr_private_segment_size 0
		.amdhsa_wavefront_size32 1
		.amdhsa_uses_dynamic_stack 0
		.amdhsa_enable_private_segment 1
		.amdhsa_system_sgpr_workgroup_id_x 1
		.amdhsa_system_sgpr_workgroup_id_y 0
		.amdhsa_system_sgpr_workgroup_id_z 0
		.amdhsa_system_sgpr_workgroup_info 0
		.amdhsa_system_vgpr_workitem_id 0
		.amdhsa_next_free_vgpr 50
		.amdhsa_next_free_sgpr 34
		.amdhsa_reserve_vcc 1
		.amdhsa_float_round_mode_32 0
		.amdhsa_float_round_mode_16_64 0
		.amdhsa_float_denorm_mode_32 3
		.amdhsa_float_denorm_mode_16_64 3
		.amdhsa_dx10_clamp 1
		.amdhsa_ieee_mode 1
		.amdhsa_fp16_overflow 0
		.amdhsa_workgroup_processor_mode 1
		.amdhsa_memory_ordered 1
		.amdhsa_forward_progress 0
		.amdhsa_shared_vgpr_count 0
		.amdhsa_exception_fp_ieee_invalid_op 0
		.amdhsa_exception_fp_denorm_src 0
		.amdhsa_exception_fp_ieee_div_zero 0
		.amdhsa_exception_fp_ieee_overflow 0
		.amdhsa_exception_fp_ieee_underflow 0
		.amdhsa_exception_fp_ieee_inexact 0
		.amdhsa_exception_int_div_zero 0
	.end_amdhsa_kernel
	.section	.text._ZN5aiter32wv_splitk_small_fp16_bf16_kernelI14__hip_bfloat16Li64ELi1ELi1ELi8ELi4ELi9EEEviiPKT_S4_PS2_ii,"axG",@progbits,_ZN5aiter32wv_splitk_small_fp16_bf16_kernelI14__hip_bfloat16Li64ELi1ELi1ELi8ELi4ELi9EEEviiPKT_S4_PS2_ii,comdat
.Lfunc_end36:
	.size	_ZN5aiter32wv_splitk_small_fp16_bf16_kernelI14__hip_bfloat16Li64ELi1ELi1ELi8ELi4ELi9EEEviiPKT_S4_PS2_ii, .Lfunc_end36-_ZN5aiter32wv_splitk_small_fp16_bf16_kernelI14__hip_bfloat16Li64ELi1ELi1ELi8ELi4ELi9EEEviiPKT_S4_PS2_ii
                                        ; -- End function
	.section	.AMDGPU.csdata,"",@progbits
; Kernel info:
; codeLenInByte = 76
; NumSgprs: 36
; NumVgprs: 50
; ScratchSize: 64
; MemoryBound: 0
; FloatMode: 240
; IeeeMode: 1
; LDSByteSize: 0 bytes/workgroup (compile time only)
; SGPRBlocks: 4
; VGPRBlocks: 6
; NumSGPRsForWavesPerEU: 36
; NumVGPRsForWavesPerEU: 50
; Occupancy: 16
; WaveLimiterHint : 1
; COMPUTE_PGM_RSRC2:SCRATCH_EN: 1
; COMPUTE_PGM_RSRC2:USER_SGPR: 15
; COMPUTE_PGM_RSRC2:TRAP_HANDLER: 0
; COMPUTE_PGM_RSRC2:TGID_X_EN: 1
; COMPUTE_PGM_RSRC2:TGID_Y_EN: 0
; COMPUTE_PGM_RSRC2:TGID_Z_EN: 0
; COMPUTE_PGM_RSRC2:TIDIG_COMP_CNT: 0
	.section	.text._ZN5aiter32wv_splitk_small_fp16_bf16_kernelI14__hip_bfloat16Li64ELi1ELi1ELi8ELi4ELi10EEEviiPKT_S4_PS2_ii,"axG",@progbits,_ZN5aiter32wv_splitk_small_fp16_bf16_kernelI14__hip_bfloat16Li64ELi1ELi1ELi8ELi4ELi10EEEviiPKT_S4_PS2_ii,comdat
	.protected	_ZN5aiter32wv_splitk_small_fp16_bf16_kernelI14__hip_bfloat16Li64ELi1ELi1ELi8ELi4ELi10EEEviiPKT_S4_PS2_ii ; -- Begin function _ZN5aiter32wv_splitk_small_fp16_bf16_kernelI14__hip_bfloat16Li64ELi1ELi1ELi8ELi4ELi10EEEviiPKT_S4_PS2_ii
	.globl	_ZN5aiter32wv_splitk_small_fp16_bf16_kernelI14__hip_bfloat16Li64ELi1ELi1ELi8ELi4ELi10EEEviiPKT_S4_PS2_ii
	.p2align	8
	.type	_ZN5aiter32wv_splitk_small_fp16_bf16_kernelI14__hip_bfloat16Li64ELi1ELi1ELi8ELi4ELi10EEEviiPKT_S4_PS2_ii,@function
_ZN5aiter32wv_splitk_small_fp16_bf16_kernelI14__hip_bfloat16Li64ELi1ELi1ELi8ELi4ELi10EEEviiPKT_S4_PS2_ii: ; @_ZN5aiter32wv_splitk_small_fp16_bf16_kernelI14__hip_bfloat16Li64ELi1ELi1ELi8ELi4ELi10EEEviiPKT_S4_PS2_ii
; %bb.0:
	s_add_u32 s8, s0, 40
	s_addc_u32 s9, s1, 0
	s_getpc_b64 s[0:1]
	s_add_u32 s0, s0, __PRETTY_FUNCTION__._ZN5aiter32wv_splitk_small_fp16_bf16_kernelI14__hip_bfloat16Li64ELi1ELi1ELi8ELi4ELi10EEEviiPKT_S4_PS2_ii@rel32@lo+4
	s_addc_u32 s1, s1, __PRETTY_FUNCTION__._ZN5aiter32wv_splitk_small_fp16_bf16_kernelI14__hip_bfloat16Li64ELi1ELi1ELi8ELi4ELi10EEEviiPKT_S4_PS2_ii@rel32@hi+12
	v_dual_mov_b32 v0, 0x2a6 :: v_dual_mov_b32 v1, s0
	v_mov_b32_e32 v2, s1
	s_mov_b32 s32, 0
	s_getpc_b64 s[2:3]
	s_add_u32 s2, s2, __assert_fail@rel32@lo+4
	s_addc_u32 s3, s3, __assert_fail@rel32@hi+12
	s_delay_alu instid0(SALU_CYCLE_1)
	s_swappc_b64 s[30:31], s[2:3]
	.section	.rodata,"a",@progbits
	.p2align	6, 0x0
	.amdhsa_kernel _ZN5aiter32wv_splitk_small_fp16_bf16_kernelI14__hip_bfloat16Li64ELi1ELi1ELi8ELi4ELi10EEEviiPKT_S4_PS2_ii
		.amdhsa_group_segment_fixed_size 0
		.amdhsa_private_segment_fixed_size 64
		.amdhsa_kernarg_size 296
		.amdhsa_user_sgpr_count 15
		.amdhsa_user_sgpr_dispatch_ptr 0
		.amdhsa_user_sgpr_queue_ptr 0
		.amdhsa_user_sgpr_kernarg_segment_ptr 1
		.amdhsa_user_sgpr_dispatch_id 0
		.amdhsa_user_sgpr_private_segment_size 0
		.amdhsa_wavefront_size32 1
		.amdhsa_uses_dynamic_stack 0
		.amdhsa_enable_private_segment 1
		.amdhsa_system_sgpr_workgroup_id_x 1
		.amdhsa_system_sgpr_workgroup_id_y 0
		.amdhsa_system_sgpr_workgroup_id_z 0
		.amdhsa_system_sgpr_workgroup_info 0
		.amdhsa_system_vgpr_workitem_id 0
		.amdhsa_next_free_vgpr 50
		.amdhsa_next_free_sgpr 34
		.amdhsa_reserve_vcc 1
		.amdhsa_float_round_mode_32 0
		.amdhsa_float_round_mode_16_64 0
		.amdhsa_float_denorm_mode_32 3
		.amdhsa_float_denorm_mode_16_64 3
		.amdhsa_dx10_clamp 1
		.amdhsa_ieee_mode 1
		.amdhsa_fp16_overflow 0
		.amdhsa_workgroup_processor_mode 1
		.amdhsa_memory_ordered 1
		.amdhsa_forward_progress 0
		.amdhsa_shared_vgpr_count 0
		.amdhsa_exception_fp_ieee_invalid_op 0
		.amdhsa_exception_fp_denorm_src 0
		.amdhsa_exception_fp_ieee_div_zero 0
		.amdhsa_exception_fp_ieee_overflow 0
		.amdhsa_exception_fp_ieee_underflow 0
		.amdhsa_exception_fp_ieee_inexact 0
		.amdhsa_exception_int_div_zero 0
	.end_amdhsa_kernel
	.section	.text._ZN5aiter32wv_splitk_small_fp16_bf16_kernelI14__hip_bfloat16Li64ELi1ELi1ELi8ELi4ELi10EEEviiPKT_S4_PS2_ii,"axG",@progbits,_ZN5aiter32wv_splitk_small_fp16_bf16_kernelI14__hip_bfloat16Li64ELi1ELi1ELi8ELi4ELi10EEEviiPKT_S4_PS2_ii,comdat
.Lfunc_end37:
	.size	_ZN5aiter32wv_splitk_small_fp16_bf16_kernelI14__hip_bfloat16Li64ELi1ELi1ELi8ELi4ELi10EEEviiPKT_S4_PS2_ii, .Lfunc_end37-_ZN5aiter32wv_splitk_small_fp16_bf16_kernelI14__hip_bfloat16Li64ELi1ELi1ELi8ELi4ELi10EEEviiPKT_S4_PS2_ii
                                        ; -- End function
	.section	.AMDGPU.csdata,"",@progbits
; Kernel info:
; codeLenInByte = 76
; NumSgprs: 36
; NumVgprs: 50
; ScratchSize: 64
; MemoryBound: 0
; FloatMode: 240
; IeeeMode: 1
; LDSByteSize: 0 bytes/workgroup (compile time only)
; SGPRBlocks: 4
; VGPRBlocks: 6
; NumSGPRsForWavesPerEU: 36
; NumVGPRsForWavesPerEU: 50
; Occupancy: 16
; WaveLimiterHint : 1
; COMPUTE_PGM_RSRC2:SCRATCH_EN: 1
; COMPUTE_PGM_RSRC2:USER_SGPR: 15
; COMPUTE_PGM_RSRC2:TRAP_HANDLER: 0
; COMPUTE_PGM_RSRC2:TGID_X_EN: 1
; COMPUTE_PGM_RSRC2:TGID_Y_EN: 0
; COMPUTE_PGM_RSRC2:TGID_Z_EN: 0
; COMPUTE_PGM_RSRC2:TIDIG_COMP_CNT: 0
	.section	.text._ZN5aiter32wv_splitk_small_fp16_bf16_kernelI14__hip_bfloat16Li64ELi1ELi1ELi8ELi4ELi11EEEviiPKT_S4_PS2_ii,"axG",@progbits,_ZN5aiter32wv_splitk_small_fp16_bf16_kernelI14__hip_bfloat16Li64ELi1ELi1ELi8ELi4ELi11EEEviiPKT_S4_PS2_ii,comdat
	.protected	_ZN5aiter32wv_splitk_small_fp16_bf16_kernelI14__hip_bfloat16Li64ELi1ELi1ELi8ELi4ELi11EEEviiPKT_S4_PS2_ii ; -- Begin function _ZN5aiter32wv_splitk_small_fp16_bf16_kernelI14__hip_bfloat16Li64ELi1ELi1ELi8ELi4ELi11EEEviiPKT_S4_PS2_ii
	.globl	_ZN5aiter32wv_splitk_small_fp16_bf16_kernelI14__hip_bfloat16Li64ELi1ELi1ELi8ELi4ELi11EEEviiPKT_S4_PS2_ii
	.p2align	8
	.type	_ZN5aiter32wv_splitk_small_fp16_bf16_kernelI14__hip_bfloat16Li64ELi1ELi1ELi8ELi4ELi11EEEviiPKT_S4_PS2_ii,@function
_ZN5aiter32wv_splitk_small_fp16_bf16_kernelI14__hip_bfloat16Li64ELi1ELi1ELi8ELi4ELi11EEEviiPKT_S4_PS2_ii: ; @_ZN5aiter32wv_splitk_small_fp16_bf16_kernelI14__hip_bfloat16Li64ELi1ELi1ELi8ELi4ELi11EEEviiPKT_S4_PS2_ii
; %bb.0:
	s_add_u32 s8, s0, 40
	s_addc_u32 s9, s1, 0
	s_getpc_b64 s[0:1]
	s_add_u32 s0, s0, __PRETTY_FUNCTION__._ZN5aiter32wv_splitk_small_fp16_bf16_kernelI14__hip_bfloat16Li64ELi1ELi1ELi8ELi4ELi11EEEviiPKT_S4_PS2_ii@rel32@lo+4
	s_addc_u32 s1, s1, __PRETTY_FUNCTION__._ZN5aiter32wv_splitk_small_fp16_bf16_kernelI14__hip_bfloat16Li64ELi1ELi1ELi8ELi4ELi11EEEviiPKT_S4_PS2_ii@rel32@hi+12
	v_dual_mov_b32 v0, 0x2a6 :: v_dual_mov_b32 v1, s0
	v_mov_b32_e32 v2, s1
	s_mov_b32 s32, 0
	s_getpc_b64 s[2:3]
	s_add_u32 s2, s2, __assert_fail@rel32@lo+4
	s_addc_u32 s3, s3, __assert_fail@rel32@hi+12
	s_delay_alu instid0(SALU_CYCLE_1)
	s_swappc_b64 s[30:31], s[2:3]
	.section	.rodata,"a",@progbits
	.p2align	6, 0x0
	.amdhsa_kernel _ZN5aiter32wv_splitk_small_fp16_bf16_kernelI14__hip_bfloat16Li64ELi1ELi1ELi8ELi4ELi11EEEviiPKT_S4_PS2_ii
		.amdhsa_group_segment_fixed_size 0
		.amdhsa_private_segment_fixed_size 64
		.amdhsa_kernarg_size 296
		.amdhsa_user_sgpr_count 15
		.amdhsa_user_sgpr_dispatch_ptr 0
		.amdhsa_user_sgpr_queue_ptr 0
		.amdhsa_user_sgpr_kernarg_segment_ptr 1
		.amdhsa_user_sgpr_dispatch_id 0
		.amdhsa_user_sgpr_private_segment_size 0
		.amdhsa_wavefront_size32 1
		.amdhsa_uses_dynamic_stack 0
		.amdhsa_enable_private_segment 1
		.amdhsa_system_sgpr_workgroup_id_x 1
		.amdhsa_system_sgpr_workgroup_id_y 0
		.amdhsa_system_sgpr_workgroup_id_z 0
		.amdhsa_system_sgpr_workgroup_info 0
		.amdhsa_system_vgpr_workitem_id 0
		.amdhsa_next_free_vgpr 50
		.amdhsa_next_free_sgpr 34
		.amdhsa_reserve_vcc 1
		.amdhsa_float_round_mode_32 0
		.amdhsa_float_round_mode_16_64 0
		.amdhsa_float_denorm_mode_32 3
		.amdhsa_float_denorm_mode_16_64 3
		.amdhsa_dx10_clamp 1
		.amdhsa_ieee_mode 1
		.amdhsa_fp16_overflow 0
		.amdhsa_workgroup_processor_mode 1
		.amdhsa_memory_ordered 1
		.amdhsa_forward_progress 0
		.amdhsa_shared_vgpr_count 0
		.amdhsa_exception_fp_ieee_invalid_op 0
		.amdhsa_exception_fp_denorm_src 0
		.amdhsa_exception_fp_ieee_div_zero 0
		.amdhsa_exception_fp_ieee_overflow 0
		.amdhsa_exception_fp_ieee_underflow 0
		.amdhsa_exception_fp_ieee_inexact 0
		.amdhsa_exception_int_div_zero 0
	.end_amdhsa_kernel
	.section	.text._ZN5aiter32wv_splitk_small_fp16_bf16_kernelI14__hip_bfloat16Li64ELi1ELi1ELi8ELi4ELi11EEEviiPKT_S4_PS2_ii,"axG",@progbits,_ZN5aiter32wv_splitk_small_fp16_bf16_kernelI14__hip_bfloat16Li64ELi1ELi1ELi8ELi4ELi11EEEviiPKT_S4_PS2_ii,comdat
.Lfunc_end38:
	.size	_ZN5aiter32wv_splitk_small_fp16_bf16_kernelI14__hip_bfloat16Li64ELi1ELi1ELi8ELi4ELi11EEEviiPKT_S4_PS2_ii, .Lfunc_end38-_ZN5aiter32wv_splitk_small_fp16_bf16_kernelI14__hip_bfloat16Li64ELi1ELi1ELi8ELi4ELi11EEEviiPKT_S4_PS2_ii
                                        ; -- End function
	.section	.AMDGPU.csdata,"",@progbits
; Kernel info:
; codeLenInByte = 76
; NumSgprs: 36
; NumVgprs: 50
; ScratchSize: 64
; MemoryBound: 0
; FloatMode: 240
; IeeeMode: 1
; LDSByteSize: 0 bytes/workgroup (compile time only)
; SGPRBlocks: 4
; VGPRBlocks: 6
; NumSGPRsForWavesPerEU: 36
; NumVGPRsForWavesPerEU: 50
; Occupancy: 16
; WaveLimiterHint : 1
; COMPUTE_PGM_RSRC2:SCRATCH_EN: 1
; COMPUTE_PGM_RSRC2:USER_SGPR: 15
; COMPUTE_PGM_RSRC2:TRAP_HANDLER: 0
; COMPUTE_PGM_RSRC2:TGID_X_EN: 1
; COMPUTE_PGM_RSRC2:TGID_Y_EN: 0
; COMPUTE_PGM_RSRC2:TGID_Z_EN: 0
; COMPUTE_PGM_RSRC2:TIDIG_COMP_CNT: 0
	.section	.text._ZN5aiter32wv_splitk_small_fp16_bf16_kernelI14__hip_bfloat16Li64ELi1ELi1ELi8ELi4ELi12EEEviiPKT_S4_PS2_ii,"axG",@progbits,_ZN5aiter32wv_splitk_small_fp16_bf16_kernelI14__hip_bfloat16Li64ELi1ELi1ELi8ELi4ELi12EEEviiPKT_S4_PS2_ii,comdat
	.protected	_ZN5aiter32wv_splitk_small_fp16_bf16_kernelI14__hip_bfloat16Li64ELi1ELi1ELi8ELi4ELi12EEEviiPKT_S4_PS2_ii ; -- Begin function _ZN5aiter32wv_splitk_small_fp16_bf16_kernelI14__hip_bfloat16Li64ELi1ELi1ELi8ELi4ELi12EEEviiPKT_S4_PS2_ii
	.globl	_ZN5aiter32wv_splitk_small_fp16_bf16_kernelI14__hip_bfloat16Li64ELi1ELi1ELi8ELi4ELi12EEEviiPKT_S4_PS2_ii
	.p2align	8
	.type	_ZN5aiter32wv_splitk_small_fp16_bf16_kernelI14__hip_bfloat16Li64ELi1ELi1ELi8ELi4ELi12EEEviiPKT_S4_PS2_ii,@function
_ZN5aiter32wv_splitk_small_fp16_bf16_kernelI14__hip_bfloat16Li64ELi1ELi1ELi8ELi4ELi12EEEviiPKT_S4_PS2_ii: ; @_ZN5aiter32wv_splitk_small_fp16_bf16_kernelI14__hip_bfloat16Li64ELi1ELi1ELi8ELi4ELi12EEEviiPKT_S4_PS2_ii
; %bb.0:
	s_add_u32 s8, s0, 40
	s_addc_u32 s9, s1, 0
	s_getpc_b64 s[0:1]
	s_add_u32 s0, s0, __PRETTY_FUNCTION__._ZN5aiter32wv_splitk_small_fp16_bf16_kernelI14__hip_bfloat16Li64ELi1ELi1ELi8ELi4ELi12EEEviiPKT_S4_PS2_ii@rel32@lo+4
	s_addc_u32 s1, s1, __PRETTY_FUNCTION__._ZN5aiter32wv_splitk_small_fp16_bf16_kernelI14__hip_bfloat16Li64ELi1ELi1ELi8ELi4ELi12EEEviiPKT_S4_PS2_ii@rel32@hi+12
	v_dual_mov_b32 v0, 0x2a6 :: v_dual_mov_b32 v1, s0
	v_mov_b32_e32 v2, s1
	s_mov_b32 s32, 0
	s_getpc_b64 s[2:3]
	s_add_u32 s2, s2, __assert_fail@rel32@lo+4
	s_addc_u32 s3, s3, __assert_fail@rel32@hi+12
	s_delay_alu instid0(SALU_CYCLE_1)
	s_swappc_b64 s[30:31], s[2:3]
	.section	.rodata,"a",@progbits
	.p2align	6, 0x0
	.amdhsa_kernel _ZN5aiter32wv_splitk_small_fp16_bf16_kernelI14__hip_bfloat16Li64ELi1ELi1ELi8ELi4ELi12EEEviiPKT_S4_PS2_ii
		.amdhsa_group_segment_fixed_size 0
		.amdhsa_private_segment_fixed_size 64
		.amdhsa_kernarg_size 296
		.amdhsa_user_sgpr_count 15
		.amdhsa_user_sgpr_dispatch_ptr 0
		.amdhsa_user_sgpr_queue_ptr 0
		.amdhsa_user_sgpr_kernarg_segment_ptr 1
		.amdhsa_user_sgpr_dispatch_id 0
		.amdhsa_user_sgpr_private_segment_size 0
		.amdhsa_wavefront_size32 1
		.amdhsa_uses_dynamic_stack 0
		.amdhsa_enable_private_segment 1
		.amdhsa_system_sgpr_workgroup_id_x 1
		.amdhsa_system_sgpr_workgroup_id_y 0
		.amdhsa_system_sgpr_workgroup_id_z 0
		.amdhsa_system_sgpr_workgroup_info 0
		.amdhsa_system_vgpr_workitem_id 0
		.amdhsa_next_free_vgpr 50
		.amdhsa_next_free_sgpr 34
		.amdhsa_reserve_vcc 1
		.amdhsa_float_round_mode_32 0
		.amdhsa_float_round_mode_16_64 0
		.amdhsa_float_denorm_mode_32 3
		.amdhsa_float_denorm_mode_16_64 3
		.amdhsa_dx10_clamp 1
		.amdhsa_ieee_mode 1
		.amdhsa_fp16_overflow 0
		.amdhsa_workgroup_processor_mode 1
		.amdhsa_memory_ordered 1
		.amdhsa_forward_progress 0
		.amdhsa_shared_vgpr_count 0
		.amdhsa_exception_fp_ieee_invalid_op 0
		.amdhsa_exception_fp_denorm_src 0
		.amdhsa_exception_fp_ieee_div_zero 0
		.amdhsa_exception_fp_ieee_overflow 0
		.amdhsa_exception_fp_ieee_underflow 0
		.amdhsa_exception_fp_ieee_inexact 0
		.amdhsa_exception_int_div_zero 0
	.end_amdhsa_kernel
	.section	.text._ZN5aiter32wv_splitk_small_fp16_bf16_kernelI14__hip_bfloat16Li64ELi1ELi1ELi8ELi4ELi12EEEviiPKT_S4_PS2_ii,"axG",@progbits,_ZN5aiter32wv_splitk_small_fp16_bf16_kernelI14__hip_bfloat16Li64ELi1ELi1ELi8ELi4ELi12EEEviiPKT_S4_PS2_ii,comdat
.Lfunc_end39:
	.size	_ZN5aiter32wv_splitk_small_fp16_bf16_kernelI14__hip_bfloat16Li64ELi1ELi1ELi8ELi4ELi12EEEviiPKT_S4_PS2_ii, .Lfunc_end39-_ZN5aiter32wv_splitk_small_fp16_bf16_kernelI14__hip_bfloat16Li64ELi1ELi1ELi8ELi4ELi12EEEviiPKT_S4_PS2_ii
                                        ; -- End function
	.section	.AMDGPU.csdata,"",@progbits
; Kernel info:
; codeLenInByte = 76
; NumSgprs: 36
; NumVgprs: 50
; ScratchSize: 64
; MemoryBound: 0
; FloatMode: 240
; IeeeMode: 1
; LDSByteSize: 0 bytes/workgroup (compile time only)
; SGPRBlocks: 4
; VGPRBlocks: 6
; NumSGPRsForWavesPerEU: 36
; NumVGPRsForWavesPerEU: 50
; Occupancy: 16
; WaveLimiterHint : 1
; COMPUTE_PGM_RSRC2:SCRATCH_EN: 1
; COMPUTE_PGM_RSRC2:USER_SGPR: 15
; COMPUTE_PGM_RSRC2:TRAP_HANDLER: 0
; COMPUTE_PGM_RSRC2:TGID_X_EN: 1
; COMPUTE_PGM_RSRC2:TGID_Y_EN: 0
; COMPUTE_PGM_RSRC2:TGID_Z_EN: 0
; COMPUTE_PGM_RSRC2:TIDIG_COMP_CNT: 0
	.section	.text._ZN5aiter32wv_splitk_small_fp16_bf16_kernelI14__hip_bfloat16Li64ELi1ELi1ELi8ELi4ELi13EEEviiPKT_S4_PS2_ii,"axG",@progbits,_ZN5aiter32wv_splitk_small_fp16_bf16_kernelI14__hip_bfloat16Li64ELi1ELi1ELi8ELi4ELi13EEEviiPKT_S4_PS2_ii,comdat
	.protected	_ZN5aiter32wv_splitk_small_fp16_bf16_kernelI14__hip_bfloat16Li64ELi1ELi1ELi8ELi4ELi13EEEviiPKT_S4_PS2_ii ; -- Begin function _ZN5aiter32wv_splitk_small_fp16_bf16_kernelI14__hip_bfloat16Li64ELi1ELi1ELi8ELi4ELi13EEEviiPKT_S4_PS2_ii
	.globl	_ZN5aiter32wv_splitk_small_fp16_bf16_kernelI14__hip_bfloat16Li64ELi1ELi1ELi8ELi4ELi13EEEviiPKT_S4_PS2_ii
	.p2align	8
	.type	_ZN5aiter32wv_splitk_small_fp16_bf16_kernelI14__hip_bfloat16Li64ELi1ELi1ELi8ELi4ELi13EEEviiPKT_S4_PS2_ii,@function
_ZN5aiter32wv_splitk_small_fp16_bf16_kernelI14__hip_bfloat16Li64ELi1ELi1ELi8ELi4ELi13EEEviiPKT_S4_PS2_ii: ; @_ZN5aiter32wv_splitk_small_fp16_bf16_kernelI14__hip_bfloat16Li64ELi1ELi1ELi8ELi4ELi13EEEviiPKT_S4_PS2_ii
; %bb.0:
	s_add_u32 s8, s0, 40
	s_addc_u32 s9, s1, 0
	s_getpc_b64 s[0:1]
	s_add_u32 s0, s0, __PRETTY_FUNCTION__._ZN5aiter32wv_splitk_small_fp16_bf16_kernelI14__hip_bfloat16Li64ELi1ELi1ELi8ELi4ELi13EEEviiPKT_S4_PS2_ii@rel32@lo+4
	s_addc_u32 s1, s1, __PRETTY_FUNCTION__._ZN5aiter32wv_splitk_small_fp16_bf16_kernelI14__hip_bfloat16Li64ELi1ELi1ELi8ELi4ELi13EEEviiPKT_S4_PS2_ii@rel32@hi+12
	v_dual_mov_b32 v0, 0x2a6 :: v_dual_mov_b32 v1, s0
	v_mov_b32_e32 v2, s1
	s_mov_b32 s32, 0
	s_getpc_b64 s[2:3]
	s_add_u32 s2, s2, __assert_fail@rel32@lo+4
	s_addc_u32 s3, s3, __assert_fail@rel32@hi+12
	s_delay_alu instid0(SALU_CYCLE_1)
	s_swappc_b64 s[30:31], s[2:3]
	.section	.rodata,"a",@progbits
	.p2align	6, 0x0
	.amdhsa_kernel _ZN5aiter32wv_splitk_small_fp16_bf16_kernelI14__hip_bfloat16Li64ELi1ELi1ELi8ELi4ELi13EEEviiPKT_S4_PS2_ii
		.amdhsa_group_segment_fixed_size 0
		.amdhsa_private_segment_fixed_size 64
		.amdhsa_kernarg_size 296
		.amdhsa_user_sgpr_count 15
		.amdhsa_user_sgpr_dispatch_ptr 0
		.amdhsa_user_sgpr_queue_ptr 0
		.amdhsa_user_sgpr_kernarg_segment_ptr 1
		.amdhsa_user_sgpr_dispatch_id 0
		.amdhsa_user_sgpr_private_segment_size 0
		.amdhsa_wavefront_size32 1
		.amdhsa_uses_dynamic_stack 0
		.amdhsa_enable_private_segment 1
		.amdhsa_system_sgpr_workgroup_id_x 1
		.amdhsa_system_sgpr_workgroup_id_y 0
		.amdhsa_system_sgpr_workgroup_id_z 0
		.amdhsa_system_sgpr_workgroup_info 0
		.amdhsa_system_vgpr_workitem_id 0
		.amdhsa_next_free_vgpr 50
		.amdhsa_next_free_sgpr 34
		.amdhsa_reserve_vcc 1
		.amdhsa_float_round_mode_32 0
		.amdhsa_float_round_mode_16_64 0
		.amdhsa_float_denorm_mode_32 3
		.amdhsa_float_denorm_mode_16_64 3
		.amdhsa_dx10_clamp 1
		.amdhsa_ieee_mode 1
		.amdhsa_fp16_overflow 0
		.amdhsa_workgroup_processor_mode 1
		.amdhsa_memory_ordered 1
		.amdhsa_forward_progress 0
		.amdhsa_shared_vgpr_count 0
		.amdhsa_exception_fp_ieee_invalid_op 0
		.amdhsa_exception_fp_denorm_src 0
		.amdhsa_exception_fp_ieee_div_zero 0
		.amdhsa_exception_fp_ieee_overflow 0
		.amdhsa_exception_fp_ieee_underflow 0
		.amdhsa_exception_fp_ieee_inexact 0
		.amdhsa_exception_int_div_zero 0
	.end_amdhsa_kernel
	.section	.text._ZN5aiter32wv_splitk_small_fp16_bf16_kernelI14__hip_bfloat16Li64ELi1ELi1ELi8ELi4ELi13EEEviiPKT_S4_PS2_ii,"axG",@progbits,_ZN5aiter32wv_splitk_small_fp16_bf16_kernelI14__hip_bfloat16Li64ELi1ELi1ELi8ELi4ELi13EEEviiPKT_S4_PS2_ii,comdat
.Lfunc_end40:
	.size	_ZN5aiter32wv_splitk_small_fp16_bf16_kernelI14__hip_bfloat16Li64ELi1ELi1ELi8ELi4ELi13EEEviiPKT_S4_PS2_ii, .Lfunc_end40-_ZN5aiter32wv_splitk_small_fp16_bf16_kernelI14__hip_bfloat16Li64ELi1ELi1ELi8ELi4ELi13EEEviiPKT_S4_PS2_ii
                                        ; -- End function
	.section	.AMDGPU.csdata,"",@progbits
; Kernel info:
; codeLenInByte = 76
; NumSgprs: 36
; NumVgprs: 50
; ScratchSize: 64
; MemoryBound: 0
; FloatMode: 240
; IeeeMode: 1
; LDSByteSize: 0 bytes/workgroup (compile time only)
; SGPRBlocks: 4
; VGPRBlocks: 6
; NumSGPRsForWavesPerEU: 36
; NumVGPRsForWavesPerEU: 50
; Occupancy: 16
; WaveLimiterHint : 1
; COMPUTE_PGM_RSRC2:SCRATCH_EN: 1
; COMPUTE_PGM_RSRC2:USER_SGPR: 15
; COMPUTE_PGM_RSRC2:TRAP_HANDLER: 0
; COMPUTE_PGM_RSRC2:TGID_X_EN: 1
; COMPUTE_PGM_RSRC2:TGID_Y_EN: 0
; COMPUTE_PGM_RSRC2:TGID_Z_EN: 0
; COMPUTE_PGM_RSRC2:TIDIG_COMP_CNT: 0
	.section	.text._ZN5aiter32wv_splitk_small_fp16_bf16_kernelI14__hip_bfloat16Li64ELi1ELi1ELi8ELi4ELi14EEEviiPKT_S4_PS2_ii,"axG",@progbits,_ZN5aiter32wv_splitk_small_fp16_bf16_kernelI14__hip_bfloat16Li64ELi1ELi1ELi8ELi4ELi14EEEviiPKT_S4_PS2_ii,comdat
	.protected	_ZN5aiter32wv_splitk_small_fp16_bf16_kernelI14__hip_bfloat16Li64ELi1ELi1ELi8ELi4ELi14EEEviiPKT_S4_PS2_ii ; -- Begin function _ZN5aiter32wv_splitk_small_fp16_bf16_kernelI14__hip_bfloat16Li64ELi1ELi1ELi8ELi4ELi14EEEviiPKT_S4_PS2_ii
	.globl	_ZN5aiter32wv_splitk_small_fp16_bf16_kernelI14__hip_bfloat16Li64ELi1ELi1ELi8ELi4ELi14EEEviiPKT_S4_PS2_ii
	.p2align	8
	.type	_ZN5aiter32wv_splitk_small_fp16_bf16_kernelI14__hip_bfloat16Li64ELi1ELi1ELi8ELi4ELi14EEEviiPKT_S4_PS2_ii,@function
_ZN5aiter32wv_splitk_small_fp16_bf16_kernelI14__hip_bfloat16Li64ELi1ELi1ELi8ELi4ELi14EEEviiPKT_S4_PS2_ii: ; @_ZN5aiter32wv_splitk_small_fp16_bf16_kernelI14__hip_bfloat16Li64ELi1ELi1ELi8ELi4ELi14EEEviiPKT_S4_PS2_ii
; %bb.0:
	s_add_u32 s8, s0, 40
	s_addc_u32 s9, s1, 0
	s_getpc_b64 s[0:1]
	s_add_u32 s0, s0, __PRETTY_FUNCTION__._ZN5aiter32wv_splitk_small_fp16_bf16_kernelI14__hip_bfloat16Li64ELi1ELi1ELi8ELi4ELi14EEEviiPKT_S4_PS2_ii@rel32@lo+4
	s_addc_u32 s1, s1, __PRETTY_FUNCTION__._ZN5aiter32wv_splitk_small_fp16_bf16_kernelI14__hip_bfloat16Li64ELi1ELi1ELi8ELi4ELi14EEEviiPKT_S4_PS2_ii@rel32@hi+12
	v_dual_mov_b32 v0, 0x2a6 :: v_dual_mov_b32 v1, s0
	v_mov_b32_e32 v2, s1
	s_mov_b32 s32, 0
	s_getpc_b64 s[2:3]
	s_add_u32 s2, s2, __assert_fail@rel32@lo+4
	s_addc_u32 s3, s3, __assert_fail@rel32@hi+12
	s_delay_alu instid0(SALU_CYCLE_1)
	s_swappc_b64 s[30:31], s[2:3]
	.section	.rodata,"a",@progbits
	.p2align	6, 0x0
	.amdhsa_kernel _ZN5aiter32wv_splitk_small_fp16_bf16_kernelI14__hip_bfloat16Li64ELi1ELi1ELi8ELi4ELi14EEEviiPKT_S4_PS2_ii
		.amdhsa_group_segment_fixed_size 0
		.amdhsa_private_segment_fixed_size 64
		.amdhsa_kernarg_size 296
		.amdhsa_user_sgpr_count 15
		.amdhsa_user_sgpr_dispatch_ptr 0
		.amdhsa_user_sgpr_queue_ptr 0
		.amdhsa_user_sgpr_kernarg_segment_ptr 1
		.amdhsa_user_sgpr_dispatch_id 0
		.amdhsa_user_sgpr_private_segment_size 0
		.amdhsa_wavefront_size32 1
		.amdhsa_uses_dynamic_stack 0
		.amdhsa_enable_private_segment 1
		.amdhsa_system_sgpr_workgroup_id_x 1
		.amdhsa_system_sgpr_workgroup_id_y 0
		.amdhsa_system_sgpr_workgroup_id_z 0
		.amdhsa_system_sgpr_workgroup_info 0
		.amdhsa_system_vgpr_workitem_id 0
		.amdhsa_next_free_vgpr 50
		.amdhsa_next_free_sgpr 34
		.amdhsa_reserve_vcc 1
		.amdhsa_float_round_mode_32 0
		.amdhsa_float_round_mode_16_64 0
		.amdhsa_float_denorm_mode_32 3
		.amdhsa_float_denorm_mode_16_64 3
		.amdhsa_dx10_clamp 1
		.amdhsa_ieee_mode 1
		.amdhsa_fp16_overflow 0
		.amdhsa_workgroup_processor_mode 1
		.amdhsa_memory_ordered 1
		.amdhsa_forward_progress 0
		.amdhsa_shared_vgpr_count 0
		.amdhsa_exception_fp_ieee_invalid_op 0
		.amdhsa_exception_fp_denorm_src 0
		.amdhsa_exception_fp_ieee_div_zero 0
		.amdhsa_exception_fp_ieee_overflow 0
		.amdhsa_exception_fp_ieee_underflow 0
		.amdhsa_exception_fp_ieee_inexact 0
		.amdhsa_exception_int_div_zero 0
	.end_amdhsa_kernel
	.section	.text._ZN5aiter32wv_splitk_small_fp16_bf16_kernelI14__hip_bfloat16Li64ELi1ELi1ELi8ELi4ELi14EEEviiPKT_S4_PS2_ii,"axG",@progbits,_ZN5aiter32wv_splitk_small_fp16_bf16_kernelI14__hip_bfloat16Li64ELi1ELi1ELi8ELi4ELi14EEEviiPKT_S4_PS2_ii,comdat
.Lfunc_end41:
	.size	_ZN5aiter32wv_splitk_small_fp16_bf16_kernelI14__hip_bfloat16Li64ELi1ELi1ELi8ELi4ELi14EEEviiPKT_S4_PS2_ii, .Lfunc_end41-_ZN5aiter32wv_splitk_small_fp16_bf16_kernelI14__hip_bfloat16Li64ELi1ELi1ELi8ELi4ELi14EEEviiPKT_S4_PS2_ii
                                        ; -- End function
	.section	.AMDGPU.csdata,"",@progbits
; Kernel info:
; codeLenInByte = 76
; NumSgprs: 36
; NumVgprs: 50
; ScratchSize: 64
; MemoryBound: 0
; FloatMode: 240
; IeeeMode: 1
; LDSByteSize: 0 bytes/workgroup (compile time only)
; SGPRBlocks: 4
; VGPRBlocks: 6
; NumSGPRsForWavesPerEU: 36
; NumVGPRsForWavesPerEU: 50
; Occupancy: 16
; WaveLimiterHint : 1
; COMPUTE_PGM_RSRC2:SCRATCH_EN: 1
; COMPUTE_PGM_RSRC2:USER_SGPR: 15
; COMPUTE_PGM_RSRC2:TRAP_HANDLER: 0
; COMPUTE_PGM_RSRC2:TGID_X_EN: 1
; COMPUTE_PGM_RSRC2:TGID_Y_EN: 0
; COMPUTE_PGM_RSRC2:TGID_Z_EN: 0
; COMPUTE_PGM_RSRC2:TIDIG_COMP_CNT: 0
	.section	.text._ZN5aiter32wv_splitk_small_fp16_bf16_kernelI14__hip_bfloat16Li64ELi1ELi1ELi8ELi4ELi15EEEviiPKT_S4_PS2_ii,"axG",@progbits,_ZN5aiter32wv_splitk_small_fp16_bf16_kernelI14__hip_bfloat16Li64ELi1ELi1ELi8ELi4ELi15EEEviiPKT_S4_PS2_ii,comdat
	.protected	_ZN5aiter32wv_splitk_small_fp16_bf16_kernelI14__hip_bfloat16Li64ELi1ELi1ELi8ELi4ELi15EEEviiPKT_S4_PS2_ii ; -- Begin function _ZN5aiter32wv_splitk_small_fp16_bf16_kernelI14__hip_bfloat16Li64ELi1ELi1ELi8ELi4ELi15EEEviiPKT_S4_PS2_ii
	.globl	_ZN5aiter32wv_splitk_small_fp16_bf16_kernelI14__hip_bfloat16Li64ELi1ELi1ELi8ELi4ELi15EEEviiPKT_S4_PS2_ii
	.p2align	8
	.type	_ZN5aiter32wv_splitk_small_fp16_bf16_kernelI14__hip_bfloat16Li64ELi1ELi1ELi8ELi4ELi15EEEviiPKT_S4_PS2_ii,@function
_ZN5aiter32wv_splitk_small_fp16_bf16_kernelI14__hip_bfloat16Li64ELi1ELi1ELi8ELi4ELi15EEEviiPKT_S4_PS2_ii: ; @_ZN5aiter32wv_splitk_small_fp16_bf16_kernelI14__hip_bfloat16Li64ELi1ELi1ELi8ELi4ELi15EEEviiPKT_S4_PS2_ii
; %bb.0:
	s_add_u32 s8, s0, 40
	s_addc_u32 s9, s1, 0
	s_getpc_b64 s[0:1]
	s_add_u32 s0, s0, __PRETTY_FUNCTION__._ZN5aiter32wv_splitk_small_fp16_bf16_kernelI14__hip_bfloat16Li64ELi1ELi1ELi8ELi4ELi15EEEviiPKT_S4_PS2_ii@rel32@lo+4
	s_addc_u32 s1, s1, __PRETTY_FUNCTION__._ZN5aiter32wv_splitk_small_fp16_bf16_kernelI14__hip_bfloat16Li64ELi1ELi1ELi8ELi4ELi15EEEviiPKT_S4_PS2_ii@rel32@hi+12
	v_dual_mov_b32 v0, 0x2a6 :: v_dual_mov_b32 v1, s0
	v_mov_b32_e32 v2, s1
	s_mov_b32 s32, 0
	s_getpc_b64 s[2:3]
	s_add_u32 s2, s2, __assert_fail@rel32@lo+4
	s_addc_u32 s3, s3, __assert_fail@rel32@hi+12
	s_delay_alu instid0(SALU_CYCLE_1)
	s_swappc_b64 s[30:31], s[2:3]
	.section	.rodata,"a",@progbits
	.p2align	6, 0x0
	.amdhsa_kernel _ZN5aiter32wv_splitk_small_fp16_bf16_kernelI14__hip_bfloat16Li64ELi1ELi1ELi8ELi4ELi15EEEviiPKT_S4_PS2_ii
		.amdhsa_group_segment_fixed_size 0
		.amdhsa_private_segment_fixed_size 64
		.amdhsa_kernarg_size 296
		.amdhsa_user_sgpr_count 15
		.amdhsa_user_sgpr_dispatch_ptr 0
		.amdhsa_user_sgpr_queue_ptr 0
		.amdhsa_user_sgpr_kernarg_segment_ptr 1
		.amdhsa_user_sgpr_dispatch_id 0
		.amdhsa_user_sgpr_private_segment_size 0
		.amdhsa_wavefront_size32 1
		.amdhsa_uses_dynamic_stack 0
		.amdhsa_enable_private_segment 1
		.amdhsa_system_sgpr_workgroup_id_x 1
		.amdhsa_system_sgpr_workgroup_id_y 0
		.amdhsa_system_sgpr_workgroup_id_z 0
		.amdhsa_system_sgpr_workgroup_info 0
		.amdhsa_system_vgpr_workitem_id 0
		.amdhsa_next_free_vgpr 50
		.amdhsa_next_free_sgpr 34
		.amdhsa_reserve_vcc 1
		.amdhsa_float_round_mode_32 0
		.amdhsa_float_round_mode_16_64 0
		.amdhsa_float_denorm_mode_32 3
		.amdhsa_float_denorm_mode_16_64 3
		.amdhsa_dx10_clamp 1
		.amdhsa_ieee_mode 1
		.amdhsa_fp16_overflow 0
		.amdhsa_workgroup_processor_mode 1
		.amdhsa_memory_ordered 1
		.amdhsa_forward_progress 0
		.amdhsa_shared_vgpr_count 0
		.amdhsa_exception_fp_ieee_invalid_op 0
		.amdhsa_exception_fp_denorm_src 0
		.amdhsa_exception_fp_ieee_div_zero 0
		.amdhsa_exception_fp_ieee_overflow 0
		.amdhsa_exception_fp_ieee_underflow 0
		.amdhsa_exception_fp_ieee_inexact 0
		.amdhsa_exception_int_div_zero 0
	.end_amdhsa_kernel
	.section	.text._ZN5aiter32wv_splitk_small_fp16_bf16_kernelI14__hip_bfloat16Li64ELi1ELi1ELi8ELi4ELi15EEEviiPKT_S4_PS2_ii,"axG",@progbits,_ZN5aiter32wv_splitk_small_fp16_bf16_kernelI14__hip_bfloat16Li64ELi1ELi1ELi8ELi4ELi15EEEviiPKT_S4_PS2_ii,comdat
.Lfunc_end42:
	.size	_ZN5aiter32wv_splitk_small_fp16_bf16_kernelI14__hip_bfloat16Li64ELi1ELi1ELi8ELi4ELi15EEEviiPKT_S4_PS2_ii, .Lfunc_end42-_ZN5aiter32wv_splitk_small_fp16_bf16_kernelI14__hip_bfloat16Li64ELi1ELi1ELi8ELi4ELi15EEEviiPKT_S4_PS2_ii
                                        ; -- End function
	.section	.AMDGPU.csdata,"",@progbits
; Kernel info:
; codeLenInByte = 76
; NumSgprs: 36
; NumVgprs: 50
; ScratchSize: 64
; MemoryBound: 0
; FloatMode: 240
; IeeeMode: 1
; LDSByteSize: 0 bytes/workgroup (compile time only)
; SGPRBlocks: 4
; VGPRBlocks: 6
; NumSGPRsForWavesPerEU: 36
; NumVGPRsForWavesPerEU: 50
; Occupancy: 16
; WaveLimiterHint : 1
; COMPUTE_PGM_RSRC2:SCRATCH_EN: 1
; COMPUTE_PGM_RSRC2:USER_SGPR: 15
; COMPUTE_PGM_RSRC2:TRAP_HANDLER: 0
; COMPUTE_PGM_RSRC2:TGID_X_EN: 1
; COMPUTE_PGM_RSRC2:TGID_Y_EN: 0
; COMPUTE_PGM_RSRC2:TGID_Z_EN: 0
; COMPUTE_PGM_RSRC2:TIDIG_COMP_CNT: 0
	.section	.text._ZN5aiter32wv_splitk_small_fp16_bf16_kernelI14__hip_bfloat16Li64ELi1ELi1ELi8ELi4ELi16EEEviiPKT_S4_PS2_ii,"axG",@progbits,_ZN5aiter32wv_splitk_small_fp16_bf16_kernelI14__hip_bfloat16Li64ELi1ELi1ELi8ELi4ELi16EEEviiPKT_S4_PS2_ii,comdat
	.protected	_ZN5aiter32wv_splitk_small_fp16_bf16_kernelI14__hip_bfloat16Li64ELi1ELi1ELi8ELi4ELi16EEEviiPKT_S4_PS2_ii ; -- Begin function _ZN5aiter32wv_splitk_small_fp16_bf16_kernelI14__hip_bfloat16Li64ELi1ELi1ELi8ELi4ELi16EEEviiPKT_S4_PS2_ii
	.globl	_ZN5aiter32wv_splitk_small_fp16_bf16_kernelI14__hip_bfloat16Li64ELi1ELi1ELi8ELi4ELi16EEEviiPKT_S4_PS2_ii
	.p2align	8
	.type	_ZN5aiter32wv_splitk_small_fp16_bf16_kernelI14__hip_bfloat16Li64ELi1ELi1ELi8ELi4ELi16EEEviiPKT_S4_PS2_ii,@function
_ZN5aiter32wv_splitk_small_fp16_bf16_kernelI14__hip_bfloat16Li64ELi1ELi1ELi8ELi4ELi16EEEviiPKT_S4_PS2_ii: ; @_ZN5aiter32wv_splitk_small_fp16_bf16_kernelI14__hip_bfloat16Li64ELi1ELi1ELi8ELi4ELi16EEEviiPKT_S4_PS2_ii
; %bb.0:
	s_add_u32 s8, s0, 40
	s_addc_u32 s9, s1, 0
	s_getpc_b64 s[0:1]
	s_add_u32 s0, s0, __PRETTY_FUNCTION__._ZN5aiter32wv_splitk_small_fp16_bf16_kernelI14__hip_bfloat16Li64ELi1ELi1ELi8ELi4ELi16EEEviiPKT_S4_PS2_ii@rel32@lo+4
	s_addc_u32 s1, s1, __PRETTY_FUNCTION__._ZN5aiter32wv_splitk_small_fp16_bf16_kernelI14__hip_bfloat16Li64ELi1ELi1ELi8ELi4ELi16EEEviiPKT_S4_PS2_ii@rel32@hi+12
	v_dual_mov_b32 v0, 0x2a6 :: v_dual_mov_b32 v1, s0
	v_mov_b32_e32 v2, s1
	s_mov_b32 s32, 0
	s_getpc_b64 s[2:3]
	s_add_u32 s2, s2, __assert_fail@rel32@lo+4
	s_addc_u32 s3, s3, __assert_fail@rel32@hi+12
	s_delay_alu instid0(SALU_CYCLE_1)
	s_swappc_b64 s[30:31], s[2:3]
	.section	.rodata,"a",@progbits
	.p2align	6, 0x0
	.amdhsa_kernel _ZN5aiter32wv_splitk_small_fp16_bf16_kernelI14__hip_bfloat16Li64ELi1ELi1ELi8ELi4ELi16EEEviiPKT_S4_PS2_ii
		.amdhsa_group_segment_fixed_size 0
		.amdhsa_private_segment_fixed_size 64
		.amdhsa_kernarg_size 296
		.amdhsa_user_sgpr_count 15
		.amdhsa_user_sgpr_dispatch_ptr 0
		.amdhsa_user_sgpr_queue_ptr 0
		.amdhsa_user_sgpr_kernarg_segment_ptr 1
		.amdhsa_user_sgpr_dispatch_id 0
		.amdhsa_user_sgpr_private_segment_size 0
		.amdhsa_wavefront_size32 1
		.amdhsa_uses_dynamic_stack 0
		.amdhsa_enable_private_segment 1
		.amdhsa_system_sgpr_workgroup_id_x 1
		.amdhsa_system_sgpr_workgroup_id_y 0
		.amdhsa_system_sgpr_workgroup_id_z 0
		.amdhsa_system_sgpr_workgroup_info 0
		.amdhsa_system_vgpr_workitem_id 0
		.amdhsa_next_free_vgpr 50
		.amdhsa_next_free_sgpr 34
		.amdhsa_reserve_vcc 1
		.amdhsa_float_round_mode_32 0
		.amdhsa_float_round_mode_16_64 0
		.amdhsa_float_denorm_mode_32 3
		.amdhsa_float_denorm_mode_16_64 3
		.amdhsa_dx10_clamp 1
		.amdhsa_ieee_mode 1
		.amdhsa_fp16_overflow 0
		.amdhsa_workgroup_processor_mode 1
		.amdhsa_memory_ordered 1
		.amdhsa_forward_progress 0
		.amdhsa_shared_vgpr_count 0
		.amdhsa_exception_fp_ieee_invalid_op 0
		.amdhsa_exception_fp_denorm_src 0
		.amdhsa_exception_fp_ieee_div_zero 0
		.amdhsa_exception_fp_ieee_overflow 0
		.amdhsa_exception_fp_ieee_underflow 0
		.amdhsa_exception_fp_ieee_inexact 0
		.amdhsa_exception_int_div_zero 0
	.end_amdhsa_kernel
	.section	.text._ZN5aiter32wv_splitk_small_fp16_bf16_kernelI14__hip_bfloat16Li64ELi1ELi1ELi8ELi4ELi16EEEviiPKT_S4_PS2_ii,"axG",@progbits,_ZN5aiter32wv_splitk_small_fp16_bf16_kernelI14__hip_bfloat16Li64ELi1ELi1ELi8ELi4ELi16EEEviiPKT_S4_PS2_ii,comdat
.Lfunc_end43:
	.size	_ZN5aiter32wv_splitk_small_fp16_bf16_kernelI14__hip_bfloat16Li64ELi1ELi1ELi8ELi4ELi16EEEviiPKT_S4_PS2_ii, .Lfunc_end43-_ZN5aiter32wv_splitk_small_fp16_bf16_kernelI14__hip_bfloat16Li64ELi1ELi1ELi8ELi4ELi16EEEviiPKT_S4_PS2_ii
                                        ; -- End function
	.section	.AMDGPU.csdata,"",@progbits
; Kernel info:
; codeLenInByte = 76
; NumSgprs: 36
; NumVgprs: 50
; ScratchSize: 64
; MemoryBound: 0
; FloatMode: 240
; IeeeMode: 1
; LDSByteSize: 0 bytes/workgroup (compile time only)
; SGPRBlocks: 4
; VGPRBlocks: 6
; NumSGPRsForWavesPerEU: 36
; NumVGPRsForWavesPerEU: 50
; Occupancy: 16
; WaveLimiterHint : 1
; COMPUTE_PGM_RSRC2:SCRATCH_EN: 1
; COMPUTE_PGM_RSRC2:USER_SGPR: 15
; COMPUTE_PGM_RSRC2:TRAP_HANDLER: 0
; COMPUTE_PGM_RSRC2:TGID_X_EN: 1
; COMPUTE_PGM_RSRC2:TGID_Y_EN: 0
; COMPUTE_PGM_RSRC2:TGID_Z_EN: 0
; COMPUTE_PGM_RSRC2:TIDIG_COMP_CNT: 0
	.section	.text._ZN5aiter16wvSplitK_hf_sml_I6__halfLi64ELi2ELi16ELi8ELi2ELi1EEEviiPKT_S4_PS2_ii,"axG",@progbits,_ZN5aiter16wvSplitK_hf_sml_I6__halfLi64ELi2ELi16ELi8ELi2ELi1EEEviiPKT_S4_PS2_ii,comdat
	.protected	_ZN5aiter16wvSplitK_hf_sml_I6__halfLi64ELi2ELi16ELi8ELi2ELi1EEEviiPKT_S4_PS2_ii ; -- Begin function _ZN5aiter16wvSplitK_hf_sml_I6__halfLi64ELi2ELi16ELi8ELi2ELi1EEEviiPKT_S4_PS2_ii
	.globl	_ZN5aiter16wvSplitK_hf_sml_I6__halfLi64ELi2ELi16ELi8ELi2ELi1EEEviiPKT_S4_PS2_ii
	.p2align	8
	.type	_ZN5aiter16wvSplitK_hf_sml_I6__halfLi64ELi2ELi16ELi8ELi2ELi1EEEviiPKT_S4_PS2_ii,@function
_ZN5aiter16wvSplitK_hf_sml_I6__halfLi64ELi2ELi16ELi8ELi2ELi1EEEviiPKT_S4_PS2_ii: ; @_ZN5aiter16wvSplitK_hf_sml_I6__halfLi64ELi2ELi16ELi8ELi2ELi1EEEviiPKT_S4_PS2_ii
; %bb.0:
	s_add_u32 s8, s0, 40
	s_addc_u32 s9, s1, 0
	s_getpc_b64 s[0:1]
	s_add_u32 s0, s0, __PRETTY_FUNCTION__._ZN5aiter16wvSplitK_hf_sml_I6__halfLi64ELi2ELi16ELi8ELi2ELi1EEEviiPKT_S4_PS2_ii@rel32@lo+4
	s_addc_u32 s1, s1, __PRETTY_FUNCTION__._ZN5aiter16wvSplitK_hf_sml_I6__halfLi64ELi2ELi16ELi8ELi2ELi1EEEviiPKT_S4_PS2_ii@rel32@hi+12
	v_dual_mov_b32 v0, 0x3ae :: v_dual_mov_b32 v1, s0
	v_mov_b32_e32 v2, s1
	s_mov_b32 s32, 0
	s_getpc_b64 s[2:3]
	s_add_u32 s2, s2, __assert_fail@rel32@lo+4
	s_addc_u32 s3, s3, __assert_fail@rel32@hi+12
	s_delay_alu instid0(SALU_CYCLE_1)
	s_swappc_b64 s[30:31], s[2:3]
	.section	.rodata,"a",@progbits
	.p2align	6, 0x0
	.amdhsa_kernel _ZN5aiter16wvSplitK_hf_sml_I6__halfLi64ELi2ELi16ELi8ELi2ELi1EEEviiPKT_S4_PS2_ii
		.amdhsa_group_segment_fixed_size 0
		.amdhsa_private_segment_fixed_size 64
		.amdhsa_kernarg_size 296
		.amdhsa_user_sgpr_count 15
		.amdhsa_user_sgpr_dispatch_ptr 0
		.amdhsa_user_sgpr_queue_ptr 0
		.amdhsa_user_sgpr_kernarg_segment_ptr 1
		.amdhsa_user_sgpr_dispatch_id 0
		.amdhsa_user_sgpr_private_segment_size 0
		.amdhsa_wavefront_size32 1
		.amdhsa_uses_dynamic_stack 0
		.amdhsa_enable_private_segment 1
		.amdhsa_system_sgpr_workgroup_id_x 1
		.amdhsa_system_sgpr_workgroup_id_y 0
		.amdhsa_system_sgpr_workgroup_id_z 0
		.amdhsa_system_sgpr_workgroup_info 0
		.amdhsa_system_vgpr_workitem_id 0
		.amdhsa_next_free_vgpr 50
		.amdhsa_next_free_sgpr 34
		.amdhsa_reserve_vcc 1
		.amdhsa_float_round_mode_32 0
		.amdhsa_float_round_mode_16_64 0
		.amdhsa_float_denorm_mode_32 3
		.amdhsa_float_denorm_mode_16_64 3
		.amdhsa_dx10_clamp 1
		.amdhsa_ieee_mode 1
		.amdhsa_fp16_overflow 0
		.amdhsa_workgroup_processor_mode 1
		.amdhsa_memory_ordered 1
		.amdhsa_forward_progress 0
		.amdhsa_shared_vgpr_count 0
		.amdhsa_exception_fp_ieee_invalid_op 0
		.amdhsa_exception_fp_denorm_src 0
		.amdhsa_exception_fp_ieee_div_zero 0
		.amdhsa_exception_fp_ieee_overflow 0
		.amdhsa_exception_fp_ieee_underflow 0
		.amdhsa_exception_fp_ieee_inexact 0
		.amdhsa_exception_int_div_zero 0
	.end_amdhsa_kernel
	.section	.text._ZN5aiter16wvSplitK_hf_sml_I6__halfLi64ELi2ELi16ELi8ELi2ELi1EEEviiPKT_S4_PS2_ii,"axG",@progbits,_ZN5aiter16wvSplitK_hf_sml_I6__halfLi64ELi2ELi16ELi8ELi2ELi1EEEviiPKT_S4_PS2_ii,comdat
.Lfunc_end44:
	.size	_ZN5aiter16wvSplitK_hf_sml_I6__halfLi64ELi2ELi16ELi8ELi2ELi1EEEviiPKT_S4_PS2_ii, .Lfunc_end44-_ZN5aiter16wvSplitK_hf_sml_I6__halfLi64ELi2ELi16ELi8ELi2ELi1EEEviiPKT_S4_PS2_ii
                                        ; -- End function
	.section	.AMDGPU.csdata,"",@progbits
; Kernel info:
; codeLenInByte = 76
; NumSgprs: 36
; NumVgprs: 50
; ScratchSize: 64
; MemoryBound: 0
; FloatMode: 240
; IeeeMode: 1
; LDSByteSize: 0 bytes/workgroup (compile time only)
; SGPRBlocks: 4
; VGPRBlocks: 6
; NumSGPRsForWavesPerEU: 36
; NumVGPRsForWavesPerEU: 50
; Occupancy: 16
; WaveLimiterHint : 1
; COMPUTE_PGM_RSRC2:SCRATCH_EN: 1
; COMPUTE_PGM_RSRC2:USER_SGPR: 15
; COMPUTE_PGM_RSRC2:TRAP_HANDLER: 0
; COMPUTE_PGM_RSRC2:TGID_X_EN: 1
; COMPUTE_PGM_RSRC2:TGID_Y_EN: 0
; COMPUTE_PGM_RSRC2:TGID_Z_EN: 0
; COMPUTE_PGM_RSRC2:TIDIG_COMP_CNT: 0
	.section	.text._ZN5aiter12wvSplitK_hf_I6__halfLi64ELi2ELi16ELi8ELi2ELi1EEEviiPKT_S4_PS2_ii,"axG",@progbits,_ZN5aiter12wvSplitK_hf_I6__halfLi64ELi2ELi16ELi8ELi2ELi1EEEviiPKT_S4_PS2_ii,comdat
	.protected	_ZN5aiter12wvSplitK_hf_I6__halfLi64ELi2ELi16ELi8ELi2ELi1EEEviiPKT_S4_PS2_ii ; -- Begin function _ZN5aiter12wvSplitK_hf_I6__halfLi64ELi2ELi16ELi8ELi2ELi1EEEviiPKT_S4_PS2_ii
	.globl	_ZN5aiter12wvSplitK_hf_I6__halfLi64ELi2ELi16ELi8ELi2ELi1EEEviiPKT_S4_PS2_ii
	.p2align	8
	.type	_ZN5aiter12wvSplitK_hf_I6__halfLi64ELi2ELi16ELi8ELi2ELi1EEEviiPKT_S4_PS2_ii,@function
_ZN5aiter12wvSplitK_hf_I6__halfLi64ELi2ELi16ELi8ELi2ELi1EEEviiPKT_S4_PS2_ii: ; @_ZN5aiter12wvSplitK_hf_I6__halfLi64ELi2ELi16ELi8ELi2ELi1EEEviiPKT_S4_PS2_ii
; %bb.0:
	s_add_u32 s8, s0, 40
	s_addc_u32 s9, s1, 0
	s_getpc_b64 s[0:1]
	s_add_u32 s0, s0, __PRETTY_FUNCTION__._ZN5aiter12wvSplitK_hf_I6__halfLi64ELi2ELi16ELi8ELi2ELi1EEEviiPKT_S4_PS2_ii@rel32@lo+4
	s_addc_u32 s1, s1, __PRETTY_FUNCTION__._ZN5aiter12wvSplitK_hf_I6__halfLi64ELi2ELi16ELi8ELi2ELi1EEEviiPKT_S4_PS2_ii@rel32@hi+12
	v_dual_mov_b32 v0, 0x4e1 :: v_dual_mov_b32 v1, s0
	v_mov_b32_e32 v2, s1
	s_mov_b32 s32, 0
	s_getpc_b64 s[2:3]
	s_add_u32 s2, s2, __assert_fail@rel32@lo+4
	s_addc_u32 s3, s3, __assert_fail@rel32@hi+12
	s_delay_alu instid0(SALU_CYCLE_1)
	s_swappc_b64 s[30:31], s[2:3]
	.section	.rodata,"a",@progbits
	.p2align	6, 0x0
	.amdhsa_kernel _ZN5aiter12wvSplitK_hf_I6__halfLi64ELi2ELi16ELi8ELi2ELi1EEEviiPKT_S4_PS2_ii
		.amdhsa_group_segment_fixed_size 0
		.amdhsa_private_segment_fixed_size 64
		.amdhsa_kernarg_size 296
		.amdhsa_user_sgpr_count 15
		.amdhsa_user_sgpr_dispatch_ptr 0
		.amdhsa_user_sgpr_queue_ptr 0
		.amdhsa_user_sgpr_kernarg_segment_ptr 1
		.amdhsa_user_sgpr_dispatch_id 0
		.amdhsa_user_sgpr_private_segment_size 0
		.amdhsa_wavefront_size32 1
		.amdhsa_uses_dynamic_stack 0
		.amdhsa_enable_private_segment 1
		.amdhsa_system_sgpr_workgroup_id_x 1
		.amdhsa_system_sgpr_workgroup_id_y 0
		.amdhsa_system_sgpr_workgroup_id_z 0
		.amdhsa_system_sgpr_workgroup_info 0
		.amdhsa_system_vgpr_workitem_id 0
		.amdhsa_next_free_vgpr 50
		.amdhsa_next_free_sgpr 34
		.amdhsa_reserve_vcc 1
		.amdhsa_float_round_mode_32 0
		.amdhsa_float_round_mode_16_64 0
		.amdhsa_float_denorm_mode_32 3
		.amdhsa_float_denorm_mode_16_64 3
		.amdhsa_dx10_clamp 1
		.amdhsa_ieee_mode 1
		.amdhsa_fp16_overflow 0
		.amdhsa_workgroup_processor_mode 1
		.amdhsa_memory_ordered 1
		.amdhsa_forward_progress 0
		.amdhsa_shared_vgpr_count 0
		.amdhsa_exception_fp_ieee_invalid_op 0
		.amdhsa_exception_fp_denorm_src 0
		.amdhsa_exception_fp_ieee_div_zero 0
		.amdhsa_exception_fp_ieee_overflow 0
		.amdhsa_exception_fp_ieee_underflow 0
		.amdhsa_exception_fp_ieee_inexact 0
		.amdhsa_exception_int_div_zero 0
	.end_amdhsa_kernel
	.section	.text._ZN5aiter12wvSplitK_hf_I6__halfLi64ELi2ELi16ELi8ELi2ELi1EEEviiPKT_S4_PS2_ii,"axG",@progbits,_ZN5aiter12wvSplitK_hf_I6__halfLi64ELi2ELi16ELi8ELi2ELi1EEEviiPKT_S4_PS2_ii,comdat
.Lfunc_end45:
	.size	_ZN5aiter12wvSplitK_hf_I6__halfLi64ELi2ELi16ELi8ELi2ELi1EEEviiPKT_S4_PS2_ii, .Lfunc_end45-_ZN5aiter12wvSplitK_hf_I6__halfLi64ELi2ELi16ELi8ELi2ELi1EEEviiPKT_S4_PS2_ii
                                        ; -- End function
	.section	.AMDGPU.csdata,"",@progbits
; Kernel info:
; codeLenInByte = 76
; NumSgprs: 36
; NumVgprs: 50
; ScratchSize: 64
; MemoryBound: 0
; FloatMode: 240
; IeeeMode: 1
; LDSByteSize: 0 bytes/workgroup (compile time only)
; SGPRBlocks: 4
; VGPRBlocks: 6
; NumSGPRsForWavesPerEU: 36
; NumVGPRsForWavesPerEU: 50
; Occupancy: 16
; WaveLimiterHint : 1
; COMPUTE_PGM_RSRC2:SCRATCH_EN: 1
; COMPUTE_PGM_RSRC2:USER_SGPR: 15
; COMPUTE_PGM_RSRC2:TRAP_HANDLER: 0
; COMPUTE_PGM_RSRC2:TGID_X_EN: 1
; COMPUTE_PGM_RSRC2:TGID_Y_EN: 0
; COMPUTE_PGM_RSRC2:TGID_Z_EN: 0
; COMPUTE_PGM_RSRC2:TIDIG_COMP_CNT: 0
	.section	.text._ZN5aiter16wvSplitK_hf_big_I6__halfLi64ELi2ELi16ELi8ELi2ELi1EEEviiPKT_S4_PS2_ii,"axG",@progbits,_ZN5aiter16wvSplitK_hf_big_I6__halfLi64ELi2ELi16ELi8ELi2ELi1EEEviiPKT_S4_PS2_ii,comdat
	.protected	_ZN5aiter16wvSplitK_hf_big_I6__halfLi64ELi2ELi16ELi8ELi2ELi1EEEviiPKT_S4_PS2_ii ; -- Begin function _ZN5aiter16wvSplitK_hf_big_I6__halfLi64ELi2ELi16ELi8ELi2ELi1EEEviiPKT_S4_PS2_ii
	.globl	_ZN5aiter16wvSplitK_hf_big_I6__halfLi64ELi2ELi16ELi8ELi2ELi1EEEviiPKT_S4_PS2_ii
	.p2align	8
	.type	_ZN5aiter16wvSplitK_hf_big_I6__halfLi64ELi2ELi16ELi8ELi2ELi1EEEviiPKT_S4_PS2_ii,@function
_ZN5aiter16wvSplitK_hf_big_I6__halfLi64ELi2ELi16ELi8ELi2ELi1EEEviiPKT_S4_PS2_ii: ; @_ZN5aiter16wvSplitK_hf_big_I6__halfLi64ELi2ELi16ELi8ELi2ELi1EEEviiPKT_S4_PS2_ii
; %bb.0:
	s_add_u32 s8, s0, 40
	s_addc_u32 s9, s1, 0
	s_getpc_b64 s[0:1]
	s_add_u32 s0, s0, __PRETTY_FUNCTION__._ZN5aiter16wvSplitK_hf_big_I6__halfLi64ELi2ELi16ELi8ELi2ELi1EEEviiPKT_S4_PS2_ii@rel32@lo+4
	s_addc_u32 s1, s1, __PRETTY_FUNCTION__._ZN5aiter16wvSplitK_hf_big_I6__halfLi64ELi2ELi16ELi8ELi2ELi1EEEviiPKT_S4_PS2_ii@rel32@hi+12
	v_dual_mov_b32 v0, 0x64f :: v_dual_mov_b32 v1, s0
	v_mov_b32_e32 v2, s1
	s_mov_b32 s32, 0
	s_getpc_b64 s[2:3]
	s_add_u32 s2, s2, __assert_fail@rel32@lo+4
	s_addc_u32 s3, s3, __assert_fail@rel32@hi+12
	s_delay_alu instid0(SALU_CYCLE_1)
	s_swappc_b64 s[30:31], s[2:3]
	.section	.rodata,"a",@progbits
	.p2align	6, 0x0
	.amdhsa_kernel _ZN5aiter16wvSplitK_hf_big_I6__halfLi64ELi2ELi16ELi8ELi2ELi1EEEviiPKT_S4_PS2_ii
		.amdhsa_group_segment_fixed_size 0
		.amdhsa_private_segment_fixed_size 64
		.amdhsa_kernarg_size 296
		.amdhsa_user_sgpr_count 15
		.amdhsa_user_sgpr_dispatch_ptr 0
		.amdhsa_user_sgpr_queue_ptr 0
		.amdhsa_user_sgpr_kernarg_segment_ptr 1
		.amdhsa_user_sgpr_dispatch_id 0
		.amdhsa_user_sgpr_private_segment_size 0
		.amdhsa_wavefront_size32 1
		.amdhsa_uses_dynamic_stack 0
		.amdhsa_enable_private_segment 1
		.amdhsa_system_sgpr_workgroup_id_x 1
		.amdhsa_system_sgpr_workgroup_id_y 0
		.amdhsa_system_sgpr_workgroup_id_z 0
		.amdhsa_system_sgpr_workgroup_info 0
		.amdhsa_system_vgpr_workitem_id 0
		.amdhsa_next_free_vgpr 50
		.amdhsa_next_free_sgpr 34
		.amdhsa_reserve_vcc 1
		.amdhsa_float_round_mode_32 0
		.amdhsa_float_round_mode_16_64 0
		.amdhsa_float_denorm_mode_32 3
		.amdhsa_float_denorm_mode_16_64 3
		.amdhsa_dx10_clamp 1
		.amdhsa_ieee_mode 1
		.amdhsa_fp16_overflow 0
		.amdhsa_workgroup_processor_mode 1
		.amdhsa_memory_ordered 1
		.amdhsa_forward_progress 0
		.amdhsa_shared_vgpr_count 0
		.amdhsa_exception_fp_ieee_invalid_op 0
		.amdhsa_exception_fp_denorm_src 0
		.amdhsa_exception_fp_ieee_div_zero 0
		.amdhsa_exception_fp_ieee_overflow 0
		.amdhsa_exception_fp_ieee_underflow 0
		.amdhsa_exception_fp_ieee_inexact 0
		.amdhsa_exception_int_div_zero 0
	.end_amdhsa_kernel
	.section	.text._ZN5aiter16wvSplitK_hf_big_I6__halfLi64ELi2ELi16ELi8ELi2ELi1EEEviiPKT_S4_PS2_ii,"axG",@progbits,_ZN5aiter16wvSplitK_hf_big_I6__halfLi64ELi2ELi16ELi8ELi2ELi1EEEviiPKT_S4_PS2_ii,comdat
.Lfunc_end46:
	.size	_ZN5aiter16wvSplitK_hf_big_I6__halfLi64ELi2ELi16ELi8ELi2ELi1EEEviiPKT_S4_PS2_ii, .Lfunc_end46-_ZN5aiter16wvSplitK_hf_big_I6__halfLi64ELi2ELi16ELi8ELi2ELi1EEEviiPKT_S4_PS2_ii
                                        ; -- End function
	.section	.AMDGPU.csdata,"",@progbits
; Kernel info:
; codeLenInByte = 76
; NumSgprs: 36
; NumVgprs: 50
; ScratchSize: 64
; MemoryBound: 0
; FloatMode: 240
; IeeeMode: 1
; LDSByteSize: 0 bytes/workgroup (compile time only)
; SGPRBlocks: 4
; VGPRBlocks: 6
; NumSGPRsForWavesPerEU: 36
; NumVGPRsForWavesPerEU: 50
; Occupancy: 16
; WaveLimiterHint : 1
; COMPUTE_PGM_RSRC2:SCRATCH_EN: 1
; COMPUTE_PGM_RSRC2:USER_SGPR: 15
; COMPUTE_PGM_RSRC2:TRAP_HANDLER: 0
; COMPUTE_PGM_RSRC2:TGID_X_EN: 1
; COMPUTE_PGM_RSRC2:TGID_Y_EN: 0
; COMPUTE_PGM_RSRC2:TGID_Z_EN: 0
; COMPUTE_PGM_RSRC2:TIDIG_COMP_CNT: 0
	.section	.text._ZN5aiter16wvSplitK_hf_sml_I6__halfLi64ELi2ELi16ELi8ELi2ELi2EEEviiPKT_S4_PS2_ii,"axG",@progbits,_ZN5aiter16wvSplitK_hf_sml_I6__halfLi64ELi2ELi16ELi8ELi2ELi2EEEviiPKT_S4_PS2_ii,comdat
	.protected	_ZN5aiter16wvSplitK_hf_sml_I6__halfLi64ELi2ELi16ELi8ELi2ELi2EEEviiPKT_S4_PS2_ii ; -- Begin function _ZN5aiter16wvSplitK_hf_sml_I6__halfLi64ELi2ELi16ELi8ELi2ELi2EEEviiPKT_S4_PS2_ii
	.globl	_ZN5aiter16wvSplitK_hf_sml_I6__halfLi64ELi2ELi16ELi8ELi2ELi2EEEviiPKT_S4_PS2_ii
	.p2align	8
	.type	_ZN5aiter16wvSplitK_hf_sml_I6__halfLi64ELi2ELi16ELi8ELi2ELi2EEEviiPKT_S4_PS2_ii,@function
_ZN5aiter16wvSplitK_hf_sml_I6__halfLi64ELi2ELi16ELi8ELi2ELi2EEEviiPKT_S4_PS2_ii: ; @_ZN5aiter16wvSplitK_hf_sml_I6__halfLi64ELi2ELi16ELi8ELi2ELi2EEEviiPKT_S4_PS2_ii
; %bb.0:
	s_add_u32 s8, s0, 40
	s_addc_u32 s9, s1, 0
	s_getpc_b64 s[0:1]
	s_add_u32 s0, s0, __PRETTY_FUNCTION__._ZN5aiter16wvSplitK_hf_sml_I6__halfLi64ELi2ELi16ELi8ELi2ELi2EEEviiPKT_S4_PS2_ii@rel32@lo+4
	s_addc_u32 s1, s1, __PRETTY_FUNCTION__._ZN5aiter16wvSplitK_hf_sml_I6__halfLi64ELi2ELi16ELi8ELi2ELi2EEEviiPKT_S4_PS2_ii@rel32@hi+12
	v_dual_mov_b32 v0, 0x3ae :: v_dual_mov_b32 v1, s0
	v_mov_b32_e32 v2, s1
	s_mov_b32 s32, 0
	s_getpc_b64 s[2:3]
	s_add_u32 s2, s2, __assert_fail@rel32@lo+4
	s_addc_u32 s3, s3, __assert_fail@rel32@hi+12
	s_delay_alu instid0(SALU_CYCLE_1)
	s_swappc_b64 s[30:31], s[2:3]
	.section	.rodata,"a",@progbits
	.p2align	6, 0x0
	.amdhsa_kernel _ZN5aiter16wvSplitK_hf_sml_I6__halfLi64ELi2ELi16ELi8ELi2ELi2EEEviiPKT_S4_PS2_ii
		.amdhsa_group_segment_fixed_size 0
		.amdhsa_private_segment_fixed_size 64
		.amdhsa_kernarg_size 296
		.amdhsa_user_sgpr_count 15
		.amdhsa_user_sgpr_dispatch_ptr 0
		.amdhsa_user_sgpr_queue_ptr 0
		.amdhsa_user_sgpr_kernarg_segment_ptr 1
		.amdhsa_user_sgpr_dispatch_id 0
		.amdhsa_user_sgpr_private_segment_size 0
		.amdhsa_wavefront_size32 1
		.amdhsa_uses_dynamic_stack 0
		.amdhsa_enable_private_segment 1
		.amdhsa_system_sgpr_workgroup_id_x 1
		.amdhsa_system_sgpr_workgroup_id_y 0
		.amdhsa_system_sgpr_workgroup_id_z 0
		.amdhsa_system_sgpr_workgroup_info 0
		.amdhsa_system_vgpr_workitem_id 0
		.amdhsa_next_free_vgpr 50
		.amdhsa_next_free_sgpr 34
		.amdhsa_reserve_vcc 1
		.amdhsa_float_round_mode_32 0
		.amdhsa_float_round_mode_16_64 0
		.amdhsa_float_denorm_mode_32 3
		.amdhsa_float_denorm_mode_16_64 3
		.amdhsa_dx10_clamp 1
		.amdhsa_ieee_mode 1
		.amdhsa_fp16_overflow 0
		.amdhsa_workgroup_processor_mode 1
		.amdhsa_memory_ordered 1
		.amdhsa_forward_progress 0
		.amdhsa_shared_vgpr_count 0
		.amdhsa_exception_fp_ieee_invalid_op 0
		.amdhsa_exception_fp_denorm_src 0
		.amdhsa_exception_fp_ieee_div_zero 0
		.amdhsa_exception_fp_ieee_overflow 0
		.amdhsa_exception_fp_ieee_underflow 0
		.amdhsa_exception_fp_ieee_inexact 0
		.amdhsa_exception_int_div_zero 0
	.end_amdhsa_kernel
	.section	.text._ZN5aiter16wvSplitK_hf_sml_I6__halfLi64ELi2ELi16ELi8ELi2ELi2EEEviiPKT_S4_PS2_ii,"axG",@progbits,_ZN5aiter16wvSplitK_hf_sml_I6__halfLi64ELi2ELi16ELi8ELi2ELi2EEEviiPKT_S4_PS2_ii,comdat
.Lfunc_end47:
	.size	_ZN5aiter16wvSplitK_hf_sml_I6__halfLi64ELi2ELi16ELi8ELi2ELi2EEEviiPKT_S4_PS2_ii, .Lfunc_end47-_ZN5aiter16wvSplitK_hf_sml_I6__halfLi64ELi2ELi16ELi8ELi2ELi2EEEviiPKT_S4_PS2_ii
                                        ; -- End function
	.section	.AMDGPU.csdata,"",@progbits
; Kernel info:
; codeLenInByte = 76
; NumSgprs: 36
; NumVgprs: 50
; ScratchSize: 64
; MemoryBound: 0
; FloatMode: 240
; IeeeMode: 1
; LDSByteSize: 0 bytes/workgroup (compile time only)
; SGPRBlocks: 4
; VGPRBlocks: 6
; NumSGPRsForWavesPerEU: 36
; NumVGPRsForWavesPerEU: 50
; Occupancy: 16
; WaveLimiterHint : 1
; COMPUTE_PGM_RSRC2:SCRATCH_EN: 1
; COMPUTE_PGM_RSRC2:USER_SGPR: 15
; COMPUTE_PGM_RSRC2:TRAP_HANDLER: 0
; COMPUTE_PGM_RSRC2:TGID_X_EN: 1
; COMPUTE_PGM_RSRC2:TGID_Y_EN: 0
; COMPUTE_PGM_RSRC2:TGID_Z_EN: 0
; COMPUTE_PGM_RSRC2:TIDIG_COMP_CNT: 0
	.section	.text._ZN5aiter12wvSplitK_hf_I6__halfLi64ELi2ELi16ELi8ELi2ELi2EEEviiPKT_S4_PS2_ii,"axG",@progbits,_ZN5aiter12wvSplitK_hf_I6__halfLi64ELi2ELi16ELi8ELi2ELi2EEEviiPKT_S4_PS2_ii,comdat
	.protected	_ZN5aiter12wvSplitK_hf_I6__halfLi64ELi2ELi16ELi8ELi2ELi2EEEviiPKT_S4_PS2_ii ; -- Begin function _ZN5aiter12wvSplitK_hf_I6__halfLi64ELi2ELi16ELi8ELi2ELi2EEEviiPKT_S4_PS2_ii
	.globl	_ZN5aiter12wvSplitK_hf_I6__halfLi64ELi2ELi16ELi8ELi2ELi2EEEviiPKT_S4_PS2_ii
	.p2align	8
	.type	_ZN5aiter12wvSplitK_hf_I6__halfLi64ELi2ELi16ELi8ELi2ELi2EEEviiPKT_S4_PS2_ii,@function
_ZN5aiter12wvSplitK_hf_I6__halfLi64ELi2ELi16ELi8ELi2ELi2EEEviiPKT_S4_PS2_ii: ; @_ZN5aiter12wvSplitK_hf_I6__halfLi64ELi2ELi16ELi8ELi2ELi2EEEviiPKT_S4_PS2_ii
; %bb.0:
	s_add_u32 s8, s0, 40
	s_addc_u32 s9, s1, 0
	s_getpc_b64 s[0:1]
	s_add_u32 s0, s0, __PRETTY_FUNCTION__._ZN5aiter12wvSplitK_hf_I6__halfLi64ELi2ELi16ELi8ELi2ELi2EEEviiPKT_S4_PS2_ii@rel32@lo+4
	s_addc_u32 s1, s1, __PRETTY_FUNCTION__._ZN5aiter12wvSplitK_hf_I6__halfLi64ELi2ELi16ELi8ELi2ELi2EEEviiPKT_S4_PS2_ii@rel32@hi+12
	v_dual_mov_b32 v0, 0x4e1 :: v_dual_mov_b32 v1, s0
	v_mov_b32_e32 v2, s1
	s_mov_b32 s32, 0
	s_getpc_b64 s[2:3]
	s_add_u32 s2, s2, __assert_fail@rel32@lo+4
	s_addc_u32 s3, s3, __assert_fail@rel32@hi+12
	s_delay_alu instid0(SALU_CYCLE_1)
	s_swappc_b64 s[30:31], s[2:3]
	.section	.rodata,"a",@progbits
	.p2align	6, 0x0
	.amdhsa_kernel _ZN5aiter12wvSplitK_hf_I6__halfLi64ELi2ELi16ELi8ELi2ELi2EEEviiPKT_S4_PS2_ii
		.amdhsa_group_segment_fixed_size 0
		.amdhsa_private_segment_fixed_size 64
		.amdhsa_kernarg_size 296
		.amdhsa_user_sgpr_count 15
		.amdhsa_user_sgpr_dispatch_ptr 0
		.amdhsa_user_sgpr_queue_ptr 0
		.amdhsa_user_sgpr_kernarg_segment_ptr 1
		.amdhsa_user_sgpr_dispatch_id 0
		.amdhsa_user_sgpr_private_segment_size 0
		.amdhsa_wavefront_size32 1
		.amdhsa_uses_dynamic_stack 0
		.amdhsa_enable_private_segment 1
		.amdhsa_system_sgpr_workgroup_id_x 1
		.amdhsa_system_sgpr_workgroup_id_y 0
		.amdhsa_system_sgpr_workgroup_id_z 0
		.amdhsa_system_sgpr_workgroup_info 0
		.amdhsa_system_vgpr_workitem_id 0
		.amdhsa_next_free_vgpr 50
		.amdhsa_next_free_sgpr 34
		.amdhsa_reserve_vcc 1
		.amdhsa_float_round_mode_32 0
		.amdhsa_float_round_mode_16_64 0
		.amdhsa_float_denorm_mode_32 3
		.amdhsa_float_denorm_mode_16_64 3
		.amdhsa_dx10_clamp 1
		.amdhsa_ieee_mode 1
		.amdhsa_fp16_overflow 0
		.amdhsa_workgroup_processor_mode 1
		.amdhsa_memory_ordered 1
		.amdhsa_forward_progress 0
		.amdhsa_shared_vgpr_count 0
		.amdhsa_exception_fp_ieee_invalid_op 0
		.amdhsa_exception_fp_denorm_src 0
		.amdhsa_exception_fp_ieee_div_zero 0
		.amdhsa_exception_fp_ieee_overflow 0
		.amdhsa_exception_fp_ieee_underflow 0
		.amdhsa_exception_fp_ieee_inexact 0
		.amdhsa_exception_int_div_zero 0
	.end_amdhsa_kernel
	.section	.text._ZN5aiter12wvSplitK_hf_I6__halfLi64ELi2ELi16ELi8ELi2ELi2EEEviiPKT_S4_PS2_ii,"axG",@progbits,_ZN5aiter12wvSplitK_hf_I6__halfLi64ELi2ELi16ELi8ELi2ELi2EEEviiPKT_S4_PS2_ii,comdat
.Lfunc_end48:
	.size	_ZN5aiter12wvSplitK_hf_I6__halfLi64ELi2ELi16ELi8ELi2ELi2EEEviiPKT_S4_PS2_ii, .Lfunc_end48-_ZN5aiter12wvSplitK_hf_I6__halfLi64ELi2ELi16ELi8ELi2ELi2EEEviiPKT_S4_PS2_ii
                                        ; -- End function
	.section	.AMDGPU.csdata,"",@progbits
; Kernel info:
; codeLenInByte = 76
; NumSgprs: 36
; NumVgprs: 50
; ScratchSize: 64
; MemoryBound: 0
; FloatMode: 240
; IeeeMode: 1
; LDSByteSize: 0 bytes/workgroup (compile time only)
; SGPRBlocks: 4
; VGPRBlocks: 6
; NumSGPRsForWavesPerEU: 36
; NumVGPRsForWavesPerEU: 50
; Occupancy: 16
; WaveLimiterHint : 1
; COMPUTE_PGM_RSRC2:SCRATCH_EN: 1
; COMPUTE_PGM_RSRC2:USER_SGPR: 15
; COMPUTE_PGM_RSRC2:TRAP_HANDLER: 0
; COMPUTE_PGM_RSRC2:TGID_X_EN: 1
; COMPUTE_PGM_RSRC2:TGID_Y_EN: 0
; COMPUTE_PGM_RSRC2:TGID_Z_EN: 0
; COMPUTE_PGM_RSRC2:TIDIG_COMP_CNT: 0
	.section	.text._ZN5aiter16wvSplitK_hf_big_I6__halfLi64ELi2ELi16ELi8ELi2ELi2EEEviiPKT_S4_PS2_ii,"axG",@progbits,_ZN5aiter16wvSplitK_hf_big_I6__halfLi64ELi2ELi16ELi8ELi2ELi2EEEviiPKT_S4_PS2_ii,comdat
	.protected	_ZN5aiter16wvSplitK_hf_big_I6__halfLi64ELi2ELi16ELi8ELi2ELi2EEEviiPKT_S4_PS2_ii ; -- Begin function _ZN5aiter16wvSplitK_hf_big_I6__halfLi64ELi2ELi16ELi8ELi2ELi2EEEviiPKT_S4_PS2_ii
	.globl	_ZN5aiter16wvSplitK_hf_big_I6__halfLi64ELi2ELi16ELi8ELi2ELi2EEEviiPKT_S4_PS2_ii
	.p2align	8
	.type	_ZN5aiter16wvSplitK_hf_big_I6__halfLi64ELi2ELi16ELi8ELi2ELi2EEEviiPKT_S4_PS2_ii,@function
_ZN5aiter16wvSplitK_hf_big_I6__halfLi64ELi2ELi16ELi8ELi2ELi2EEEviiPKT_S4_PS2_ii: ; @_ZN5aiter16wvSplitK_hf_big_I6__halfLi64ELi2ELi16ELi8ELi2ELi2EEEviiPKT_S4_PS2_ii
; %bb.0:
	s_add_u32 s8, s0, 40
	s_addc_u32 s9, s1, 0
	s_getpc_b64 s[0:1]
	s_add_u32 s0, s0, __PRETTY_FUNCTION__._ZN5aiter16wvSplitK_hf_big_I6__halfLi64ELi2ELi16ELi8ELi2ELi2EEEviiPKT_S4_PS2_ii@rel32@lo+4
	s_addc_u32 s1, s1, __PRETTY_FUNCTION__._ZN5aiter16wvSplitK_hf_big_I6__halfLi64ELi2ELi16ELi8ELi2ELi2EEEviiPKT_S4_PS2_ii@rel32@hi+12
	v_dual_mov_b32 v0, 0x64f :: v_dual_mov_b32 v1, s0
	v_mov_b32_e32 v2, s1
	s_mov_b32 s32, 0
	s_getpc_b64 s[2:3]
	s_add_u32 s2, s2, __assert_fail@rel32@lo+4
	s_addc_u32 s3, s3, __assert_fail@rel32@hi+12
	s_delay_alu instid0(SALU_CYCLE_1)
	s_swappc_b64 s[30:31], s[2:3]
	.section	.rodata,"a",@progbits
	.p2align	6, 0x0
	.amdhsa_kernel _ZN5aiter16wvSplitK_hf_big_I6__halfLi64ELi2ELi16ELi8ELi2ELi2EEEviiPKT_S4_PS2_ii
		.amdhsa_group_segment_fixed_size 0
		.amdhsa_private_segment_fixed_size 64
		.amdhsa_kernarg_size 296
		.amdhsa_user_sgpr_count 15
		.amdhsa_user_sgpr_dispatch_ptr 0
		.amdhsa_user_sgpr_queue_ptr 0
		.amdhsa_user_sgpr_kernarg_segment_ptr 1
		.amdhsa_user_sgpr_dispatch_id 0
		.amdhsa_user_sgpr_private_segment_size 0
		.amdhsa_wavefront_size32 1
		.amdhsa_uses_dynamic_stack 0
		.amdhsa_enable_private_segment 1
		.amdhsa_system_sgpr_workgroup_id_x 1
		.amdhsa_system_sgpr_workgroup_id_y 0
		.amdhsa_system_sgpr_workgroup_id_z 0
		.amdhsa_system_sgpr_workgroup_info 0
		.amdhsa_system_vgpr_workitem_id 0
		.amdhsa_next_free_vgpr 50
		.amdhsa_next_free_sgpr 34
		.amdhsa_reserve_vcc 1
		.amdhsa_float_round_mode_32 0
		.amdhsa_float_round_mode_16_64 0
		.amdhsa_float_denorm_mode_32 3
		.amdhsa_float_denorm_mode_16_64 3
		.amdhsa_dx10_clamp 1
		.amdhsa_ieee_mode 1
		.amdhsa_fp16_overflow 0
		.amdhsa_workgroup_processor_mode 1
		.amdhsa_memory_ordered 1
		.amdhsa_forward_progress 0
		.amdhsa_shared_vgpr_count 0
		.amdhsa_exception_fp_ieee_invalid_op 0
		.amdhsa_exception_fp_denorm_src 0
		.amdhsa_exception_fp_ieee_div_zero 0
		.amdhsa_exception_fp_ieee_overflow 0
		.amdhsa_exception_fp_ieee_underflow 0
		.amdhsa_exception_fp_ieee_inexact 0
		.amdhsa_exception_int_div_zero 0
	.end_amdhsa_kernel
	.section	.text._ZN5aiter16wvSplitK_hf_big_I6__halfLi64ELi2ELi16ELi8ELi2ELi2EEEviiPKT_S4_PS2_ii,"axG",@progbits,_ZN5aiter16wvSplitK_hf_big_I6__halfLi64ELi2ELi16ELi8ELi2ELi2EEEviiPKT_S4_PS2_ii,comdat
.Lfunc_end49:
	.size	_ZN5aiter16wvSplitK_hf_big_I6__halfLi64ELi2ELi16ELi8ELi2ELi2EEEviiPKT_S4_PS2_ii, .Lfunc_end49-_ZN5aiter16wvSplitK_hf_big_I6__halfLi64ELi2ELi16ELi8ELi2ELi2EEEviiPKT_S4_PS2_ii
                                        ; -- End function
	.section	.AMDGPU.csdata,"",@progbits
; Kernel info:
; codeLenInByte = 76
; NumSgprs: 36
; NumVgprs: 50
; ScratchSize: 64
; MemoryBound: 0
; FloatMode: 240
; IeeeMode: 1
; LDSByteSize: 0 bytes/workgroup (compile time only)
; SGPRBlocks: 4
; VGPRBlocks: 6
; NumSGPRsForWavesPerEU: 36
; NumVGPRsForWavesPerEU: 50
; Occupancy: 16
; WaveLimiterHint : 1
; COMPUTE_PGM_RSRC2:SCRATCH_EN: 1
; COMPUTE_PGM_RSRC2:USER_SGPR: 15
; COMPUTE_PGM_RSRC2:TRAP_HANDLER: 0
; COMPUTE_PGM_RSRC2:TGID_X_EN: 1
; COMPUTE_PGM_RSRC2:TGID_Y_EN: 0
; COMPUTE_PGM_RSRC2:TGID_Z_EN: 0
; COMPUTE_PGM_RSRC2:TIDIG_COMP_CNT: 0
	.section	.text._ZN5aiter16wvSplitK_hf_sml_I6__halfLi64ELi4ELi16ELi8ELi1ELi3EEEviiPKT_S4_PS2_ii,"axG",@progbits,_ZN5aiter16wvSplitK_hf_sml_I6__halfLi64ELi4ELi16ELi8ELi1ELi3EEEviiPKT_S4_PS2_ii,comdat
	.protected	_ZN5aiter16wvSplitK_hf_sml_I6__halfLi64ELi4ELi16ELi8ELi1ELi3EEEviiPKT_S4_PS2_ii ; -- Begin function _ZN5aiter16wvSplitK_hf_sml_I6__halfLi64ELi4ELi16ELi8ELi1ELi3EEEviiPKT_S4_PS2_ii
	.globl	_ZN5aiter16wvSplitK_hf_sml_I6__halfLi64ELi4ELi16ELi8ELi1ELi3EEEviiPKT_S4_PS2_ii
	.p2align	8
	.type	_ZN5aiter16wvSplitK_hf_sml_I6__halfLi64ELi4ELi16ELi8ELi1ELi3EEEviiPKT_S4_PS2_ii,@function
_ZN5aiter16wvSplitK_hf_sml_I6__halfLi64ELi4ELi16ELi8ELi1ELi3EEEviiPKT_S4_PS2_ii: ; @_ZN5aiter16wvSplitK_hf_sml_I6__halfLi64ELi4ELi16ELi8ELi1ELi3EEEviiPKT_S4_PS2_ii
; %bb.0:
	s_add_u32 s8, s0, 40
	s_addc_u32 s9, s1, 0
	s_getpc_b64 s[0:1]
	s_add_u32 s0, s0, __PRETTY_FUNCTION__._ZN5aiter16wvSplitK_hf_sml_I6__halfLi64ELi4ELi16ELi8ELi1ELi3EEEviiPKT_S4_PS2_ii@rel32@lo+4
	s_addc_u32 s1, s1, __PRETTY_FUNCTION__._ZN5aiter16wvSplitK_hf_sml_I6__halfLi64ELi4ELi16ELi8ELi1ELi3EEEviiPKT_S4_PS2_ii@rel32@hi+12
	v_dual_mov_b32 v0, 0x3ae :: v_dual_mov_b32 v1, s0
	v_mov_b32_e32 v2, s1
	s_mov_b32 s32, 0
	s_getpc_b64 s[2:3]
	s_add_u32 s2, s2, __assert_fail@rel32@lo+4
	s_addc_u32 s3, s3, __assert_fail@rel32@hi+12
	s_delay_alu instid0(SALU_CYCLE_1)
	s_swappc_b64 s[30:31], s[2:3]
	.section	.rodata,"a",@progbits
	.p2align	6, 0x0
	.amdhsa_kernel _ZN5aiter16wvSplitK_hf_sml_I6__halfLi64ELi4ELi16ELi8ELi1ELi3EEEviiPKT_S4_PS2_ii
		.amdhsa_group_segment_fixed_size 0
		.amdhsa_private_segment_fixed_size 64
		.amdhsa_kernarg_size 296
		.amdhsa_user_sgpr_count 15
		.amdhsa_user_sgpr_dispatch_ptr 0
		.amdhsa_user_sgpr_queue_ptr 0
		.amdhsa_user_sgpr_kernarg_segment_ptr 1
		.amdhsa_user_sgpr_dispatch_id 0
		.amdhsa_user_sgpr_private_segment_size 0
		.amdhsa_wavefront_size32 1
		.amdhsa_uses_dynamic_stack 0
		.amdhsa_enable_private_segment 1
		.amdhsa_system_sgpr_workgroup_id_x 1
		.amdhsa_system_sgpr_workgroup_id_y 0
		.amdhsa_system_sgpr_workgroup_id_z 0
		.amdhsa_system_sgpr_workgroup_info 0
		.amdhsa_system_vgpr_workitem_id 0
		.amdhsa_next_free_vgpr 50
		.amdhsa_next_free_sgpr 34
		.amdhsa_reserve_vcc 1
		.amdhsa_float_round_mode_32 0
		.amdhsa_float_round_mode_16_64 0
		.amdhsa_float_denorm_mode_32 3
		.amdhsa_float_denorm_mode_16_64 3
		.amdhsa_dx10_clamp 1
		.amdhsa_ieee_mode 1
		.amdhsa_fp16_overflow 0
		.amdhsa_workgroup_processor_mode 1
		.amdhsa_memory_ordered 1
		.amdhsa_forward_progress 0
		.amdhsa_shared_vgpr_count 0
		.amdhsa_exception_fp_ieee_invalid_op 0
		.amdhsa_exception_fp_denorm_src 0
		.amdhsa_exception_fp_ieee_div_zero 0
		.amdhsa_exception_fp_ieee_overflow 0
		.amdhsa_exception_fp_ieee_underflow 0
		.amdhsa_exception_fp_ieee_inexact 0
		.amdhsa_exception_int_div_zero 0
	.end_amdhsa_kernel
	.section	.text._ZN5aiter16wvSplitK_hf_sml_I6__halfLi64ELi4ELi16ELi8ELi1ELi3EEEviiPKT_S4_PS2_ii,"axG",@progbits,_ZN5aiter16wvSplitK_hf_sml_I6__halfLi64ELi4ELi16ELi8ELi1ELi3EEEviiPKT_S4_PS2_ii,comdat
.Lfunc_end50:
	.size	_ZN5aiter16wvSplitK_hf_sml_I6__halfLi64ELi4ELi16ELi8ELi1ELi3EEEviiPKT_S4_PS2_ii, .Lfunc_end50-_ZN5aiter16wvSplitK_hf_sml_I6__halfLi64ELi4ELi16ELi8ELi1ELi3EEEviiPKT_S4_PS2_ii
                                        ; -- End function
	.section	.AMDGPU.csdata,"",@progbits
; Kernel info:
; codeLenInByte = 76
; NumSgprs: 36
; NumVgprs: 50
; ScratchSize: 64
; MemoryBound: 0
; FloatMode: 240
; IeeeMode: 1
; LDSByteSize: 0 bytes/workgroup (compile time only)
; SGPRBlocks: 4
; VGPRBlocks: 6
; NumSGPRsForWavesPerEU: 36
; NumVGPRsForWavesPerEU: 50
; Occupancy: 16
; WaveLimiterHint : 1
; COMPUTE_PGM_RSRC2:SCRATCH_EN: 1
; COMPUTE_PGM_RSRC2:USER_SGPR: 15
; COMPUTE_PGM_RSRC2:TRAP_HANDLER: 0
; COMPUTE_PGM_RSRC2:TGID_X_EN: 1
; COMPUTE_PGM_RSRC2:TGID_Y_EN: 0
; COMPUTE_PGM_RSRC2:TGID_Z_EN: 0
; COMPUTE_PGM_RSRC2:TIDIG_COMP_CNT: 0
	.section	.text._ZN5aiter12wvSplitK_hf_I6__halfLi64ELi7ELi16ELi8ELi1ELi3EEEviiPKT_S4_PS2_ii,"axG",@progbits,_ZN5aiter12wvSplitK_hf_I6__halfLi64ELi7ELi16ELi8ELi1ELi3EEEviiPKT_S4_PS2_ii,comdat
	.protected	_ZN5aiter12wvSplitK_hf_I6__halfLi64ELi7ELi16ELi8ELi1ELi3EEEviiPKT_S4_PS2_ii ; -- Begin function _ZN5aiter12wvSplitK_hf_I6__halfLi64ELi7ELi16ELi8ELi1ELi3EEEviiPKT_S4_PS2_ii
	.globl	_ZN5aiter12wvSplitK_hf_I6__halfLi64ELi7ELi16ELi8ELi1ELi3EEEviiPKT_S4_PS2_ii
	.p2align	8
	.type	_ZN5aiter12wvSplitK_hf_I6__halfLi64ELi7ELi16ELi8ELi1ELi3EEEviiPKT_S4_PS2_ii,@function
_ZN5aiter12wvSplitK_hf_I6__halfLi64ELi7ELi16ELi8ELi1ELi3EEEviiPKT_S4_PS2_ii: ; @_ZN5aiter12wvSplitK_hf_I6__halfLi64ELi7ELi16ELi8ELi1ELi3EEEviiPKT_S4_PS2_ii
; %bb.0:
	s_add_u32 s8, s0, 40
	s_addc_u32 s9, s1, 0
	s_getpc_b64 s[0:1]
	s_add_u32 s0, s0, __PRETTY_FUNCTION__._ZN5aiter12wvSplitK_hf_I6__halfLi64ELi7ELi16ELi8ELi1ELi3EEEviiPKT_S4_PS2_ii@rel32@lo+4
	s_addc_u32 s1, s1, __PRETTY_FUNCTION__._ZN5aiter12wvSplitK_hf_I6__halfLi64ELi7ELi16ELi8ELi1ELi3EEEviiPKT_S4_PS2_ii@rel32@hi+12
	v_dual_mov_b32 v0, 0x4e1 :: v_dual_mov_b32 v1, s0
	v_mov_b32_e32 v2, s1
	s_mov_b32 s32, 0
	s_getpc_b64 s[2:3]
	s_add_u32 s2, s2, __assert_fail@rel32@lo+4
	s_addc_u32 s3, s3, __assert_fail@rel32@hi+12
	s_delay_alu instid0(SALU_CYCLE_1)
	s_swappc_b64 s[30:31], s[2:3]
	.section	.rodata,"a",@progbits
	.p2align	6, 0x0
	.amdhsa_kernel _ZN5aiter12wvSplitK_hf_I6__halfLi64ELi7ELi16ELi8ELi1ELi3EEEviiPKT_S4_PS2_ii
		.amdhsa_group_segment_fixed_size 0
		.amdhsa_private_segment_fixed_size 64
		.amdhsa_kernarg_size 296
		.amdhsa_user_sgpr_count 15
		.amdhsa_user_sgpr_dispatch_ptr 0
		.amdhsa_user_sgpr_queue_ptr 0
		.amdhsa_user_sgpr_kernarg_segment_ptr 1
		.amdhsa_user_sgpr_dispatch_id 0
		.amdhsa_user_sgpr_private_segment_size 0
		.amdhsa_wavefront_size32 1
		.amdhsa_uses_dynamic_stack 0
		.amdhsa_enable_private_segment 1
		.amdhsa_system_sgpr_workgroup_id_x 1
		.amdhsa_system_sgpr_workgroup_id_y 0
		.amdhsa_system_sgpr_workgroup_id_z 0
		.amdhsa_system_sgpr_workgroup_info 0
		.amdhsa_system_vgpr_workitem_id 0
		.amdhsa_next_free_vgpr 50
		.amdhsa_next_free_sgpr 34
		.amdhsa_reserve_vcc 1
		.amdhsa_float_round_mode_32 0
		.amdhsa_float_round_mode_16_64 0
		.amdhsa_float_denorm_mode_32 3
		.amdhsa_float_denorm_mode_16_64 3
		.amdhsa_dx10_clamp 1
		.amdhsa_ieee_mode 1
		.amdhsa_fp16_overflow 0
		.amdhsa_workgroup_processor_mode 1
		.amdhsa_memory_ordered 1
		.amdhsa_forward_progress 0
		.amdhsa_shared_vgpr_count 0
		.amdhsa_exception_fp_ieee_invalid_op 0
		.amdhsa_exception_fp_denorm_src 0
		.amdhsa_exception_fp_ieee_div_zero 0
		.amdhsa_exception_fp_ieee_overflow 0
		.amdhsa_exception_fp_ieee_underflow 0
		.amdhsa_exception_fp_ieee_inexact 0
		.amdhsa_exception_int_div_zero 0
	.end_amdhsa_kernel
	.section	.text._ZN5aiter12wvSplitK_hf_I6__halfLi64ELi7ELi16ELi8ELi1ELi3EEEviiPKT_S4_PS2_ii,"axG",@progbits,_ZN5aiter12wvSplitK_hf_I6__halfLi64ELi7ELi16ELi8ELi1ELi3EEEviiPKT_S4_PS2_ii,comdat
.Lfunc_end51:
	.size	_ZN5aiter12wvSplitK_hf_I6__halfLi64ELi7ELi16ELi8ELi1ELi3EEEviiPKT_S4_PS2_ii, .Lfunc_end51-_ZN5aiter12wvSplitK_hf_I6__halfLi64ELi7ELi16ELi8ELi1ELi3EEEviiPKT_S4_PS2_ii
                                        ; -- End function
	.section	.AMDGPU.csdata,"",@progbits
; Kernel info:
; codeLenInByte = 76
; NumSgprs: 36
; NumVgprs: 50
; ScratchSize: 64
; MemoryBound: 0
; FloatMode: 240
; IeeeMode: 1
; LDSByteSize: 0 bytes/workgroup (compile time only)
; SGPRBlocks: 4
; VGPRBlocks: 6
; NumSGPRsForWavesPerEU: 36
; NumVGPRsForWavesPerEU: 50
; Occupancy: 16
; WaveLimiterHint : 1
; COMPUTE_PGM_RSRC2:SCRATCH_EN: 1
; COMPUTE_PGM_RSRC2:USER_SGPR: 15
; COMPUTE_PGM_RSRC2:TRAP_HANDLER: 0
; COMPUTE_PGM_RSRC2:TGID_X_EN: 1
; COMPUTE_PGM_RSRC2:TGID_Y_EN: 0
; COMPUTE_PGM_RSRC2:TGID_Z_EN: 0
; COMPUTE_PGM_RSRC2:TIDIG_COMP_CNT: 0
	.section	.text._ZN5aiter16wvSplitK_hf_big_I6__halfLi64ELi7ELi16ELi8ELi1ELi3EEEviiPKT_S4_PS2_ii,"axG",@progbits,_ZN5aiter16wvSplitK_hf_big_I6__halfLi64ELi7ELi16ELi8ELi1ELi3EEEviiPKT_S4_PS2_ii,comdat
	.protected	_ZN5aiter16wvSplitK_hf_big_I6__halfLi64ELi7ELi16ELi8ELi1ELi3EEEviiPKT_S4_PS2_ii ; -- Begin function _ZN5aiter16wvSplitK_hf_big_I6__halfLi64ELi7ELi16ELi8ELi1ELi3EEEviiPKT_S4_PS2_ii
	.globl	_ZN5aiter16wvSplitK_hf_big_I6__halfLi64ELi7ELi16ELi8ELi1ELi3EEEviiPKT_S4_PS2_ii
	.p2align	8
	.type	_ZN5aiter16wvSplitK_hf_big_I6__halfLi64ELi7ELi16ELi8ELi1ELi3EEEviiPKT_S4_PS2_ii,@function
_ZN5aiter16wvSplitK_hf_big_I6__halfLi64ELi7ELi16ELi8ELi1ELi3EEEviiPKT_S4_PS2_ii: ; @_ZN5aiter16wvSplitK_hf_big_I6__halfLi64ELi7ELi16ELi8ELi1ELi3EEEviiPKT_S4_PS2_ii
; %bb.0:
	s_add_u32 s8, s0, 40
	s_addc_u32 s9, s1, 0
	s_getpc_b64 s[0:1]
	s_add_u32 s0, s0, __PRETTY_FUNCTION__._ZN5aiter16wvSplitK_hf_big_I6__halfLi64ELi7ELi16ELi8ELi1ELi3EEEviiPKT_S4_PS2_ii@rel32@lo+4
	s_addc_u32 s1, s1, __PRETTY_FUNCTION__._ZN5aiter16wvSplitK_hf_big_I6__halfLi64ELi7ELi16ELi8ELi1ELi3EEEviiPKT_S4_PS2_ii@rel32@hi+12
	v_dual_mov_b32 v0, 0x64f :: v_dual_mov_b32 v1, s0
	v_mov_b32_e32 v2, s1
	s_mov_b32 s32, 0
	s_getpc_b64 s[2:3]
	s_add_u32 s2, s2, __assert_fail@rel32@lo+4
	s_addc_u32 s3, s3, __assert_fail@rel32@hi+12
	s_delay_alu instid0(SALU_CYCLE_1)
	s_swappc_b64 s[30:31], s[2:3]
	.section	.rodata,"a",@progbits
	.p2align	6, 0x0
	.amdhsa_kernel _ZN5aiter16wvSplitK_hf_big_I6__halfLi64ELi7ELi16ELi8ELi1ELi3EEEviiPKT_S4_PS2_ii
		.amdhsa_group_segment_fixed_size 0
		.amdhsa_private_segment_fixed_size 64
		.amdhsa_kernarg_size 296
		.amdhsa_user_sgpr_count 15
		.amdhsa_user_sgpr_dispatch_ptr 0
		.amdhsa_user_sgpr_queue_ptr 0
		.amdhsa_user_sgpr_kernarg_segment_ptr 1
		.amdhsa_user_sgpr_dispatch_id 0
		.amdhsa_user_sgpr_private_segment_size 0
		.amdhsa_wavefront_size32 1
		.amdhsa_uses_dynamic_stack 0
		.amdhsa_enable_private_segment 1
		.amdhsa_system_sgpr_workgroup_id_x 1
		.amdhsa_system_sgpr_workgroup_id_y 0
		.amdhsa_system_sgpr_workgroup_id_z 0
		.amdhsa_system_sgpr_workgroup_info 0
		.amdhsa_system_vgpr_workitem_id 0
		.amdhsa_next_free_vgpr 50
		.amdhsa_next_free_sgpr 34
		.amdhsa_reserve_vcc 1
		.amdhsa_float_round_mode_32 0
		.amdhsa_float_round_mode_16_64 0
		.amdhsa_float_denorm_mode_32 3
		.amdhsa_float_denorm_mode_16_64 3
		.amdhsa_dx10_clamp 1
		.amdhsa_ieee_mode 1
		.amdhsa_fp16_overflow 0
		.amdhsa_workgroup_processor_mode 1
		.amdhsa_memory_ordered 1
		.amdhsa_forward_progress 0
		.amdhsa_shared_vgpr_count 0
		.amdhsa_exception_fp_ieee_invalid_op 0
		.amdhsa_exception_fp_denorm_src 0
		.amdhsa_exception_fp_ieee_div_zero 0
		.amdhsa_exception_fp_ieee_overflow 0
		.amdhsa_exception_fp_ieee_underflow 0
		.amdhsa_exception_fp_ieee_inexact 0
		.amdhsa_exception_int_div_zero 0
	.end_amdhsa_kernel
	.section	.text._ZN5aiter16wvSplitK_hf_big_I6__halfLi64ELi7ELi16ELi8ELi1ELi3EEEviiPKT_S4_PS2_ii,"axG",@progbits,_ZN5aiter16wvSplitK_hf_big_I6__halfLi64ELi7ELi16ELi8ELi1ELi3EEEviiPKT_S4_PS2_ii,comdat
.Lfunc_end52:
	.size	_ZN5aiter16wvSplitK_hf_big_I6__halfLi64ELi7ELi16ELi8ELi1ELi3EEEviiPKT_S4_PS2_ii, .Lfunc_end52-_ZN5aiter16wvSplitK_hf_big_I6__halfLi64ELi7ELi16ELi8ELi1ELi3EEEviiPKT_S4_PS2_ii
                                        ; -- End function
	.section	.AMDGPU.csdata,"",@progbits
; Kernel info:
; codeLenInByte = 76
; NumSgprs: 36
; NumVgprs: 50
; ScratchSize: 64
; MemoryBound: 0
; FloatMode: 240
; IeeeMode: 1
; LDSByteSize: 0 bytes/workgroup (compile time only)
; SGPRBlocks: 4
; VGPRBlocks: 6
; NumSGPRsForWavesPerEU: 36
; NumVGPRsForWavesPerEU: 50
; Occupancy: 16
; WaveLimiterHint : 1
; COMPUTE_PGM_RSRC2:SCRATCH_EN: 1
; COMPUTE_PGM_RSRC2:USER_SGPR: 15
; COMPUTE_PGM_RSRC2:TRAP_HANDLER: 0
; COMPUTE_PGM_RSRC2:TGID_X_EN: 1
; COMPUTE_PGM_RSRC2:TGID_Y_EN: 0
; COMPUTE_PGM_RSRC2:TGID_Z_EN: 0
; COMPUTE_PGM_RSRC2:TIDIG_COMP_CNT: 0
	.section	.text._ZN5aiter16wvSplitK_hf_sml_I6__halfLi64ELi4ELi16ELi8ELi1ELi4EEEviiPKT_S4_PS2_ii,"axG",@progbits,_ZN5aiter16wvSplitK_hf_sml_I6__halfLi64ELi4ELi16ELi8ELi1ELi4EEEviiPKT_S4_PS2_ii,comdat
	.protected	_ZN5aiter16wvSplitK_hf_sml_I6__halfLi64ELi4ELi16ELi8ELi1ELi4EEEviiPKT_S4_PS2_ii ; -- Begin function _ZN5aiter16wvSplitK_hf_sml_I6__halfLi64ELi4ELi16ELi8ELi1ELi4EEEviiPKT_S4_PS2_ii
	.globl	_ZN5aiter16wvSplitK_hf_sml_I6__halfLi64ELi4ELi16ELi8ELi1ELi4EEEviiPKT_S4_PS2_ii
	.p2align	8
	.type	_ZN5aiter16wvSplitK_hf_sml_I6__halfLi64ELi4ELi16ELi8ELi1ELi4EEEviiPKT_S4_PS2_ii,@function
_ZN5aiter16wvSplitK_hf_sml_I6__halfLi64ELi4ELi16ELi8ELi1ELi4EEEviiPKT_S4_PS2_ii: ; @_ZN5aiter16wvSplitK_hf_sml_I6__halfLi64ELi4ELi16ELi8ELi1ELi4EEEviiPKT_S4_PS2_ii
; %bb.0:
	s_add_u32 s8, s0, 40
	s_addc_u32 s9, s1, 0
	s_getpc_b64 s[0:1]
	s_add_u32 s0, s0, __PRETTY_FUNCTION__._ZN5aiter16wvSplitK_hf_sml_I6__halfLi64ELi4ELi16ELi8ELi1ELi4EEEviiPKT_S4_PS2_ii@rel32@lo+4
	s_addc_u32 s1, s1, __PRETTY_FUNCTION__._ZN5aiter16wvSplitK_hf_sml_I6__halfLi64ELi4ELi16ELi8ELi1ELi4EEEviiPKT_S4_PS2_ii@rel32@hi+12
	v_dual_mov_b32 v0, 0x3ae :: v_dual_mov_b32 v1, s0
	v_mov_b32_e32 v2, s1
	s_mov_b32 s32, 0
	s_getpc_b64 s[2:3]
	s_add_u32 s2, s2, __assert_fail@rel32@lo+4
	s_addc_u32 s3, s3, __assert_fail@rel32@hi+12
	s_delay_alu instid0(SALU_CYCLE_1)
	s_swappc_b64 s[30:31], s[2:3]
	.section	.rodata,"a",@progbits
	.p2align	6, 0x0
	.amdhsa_kernel _ZN5aiter16wvSplitK_hf_sml_I6__halfLi64ELi4ELi16ELi8ELi1ELi4EEEviiPKT_S4_PS2_ii
		.amdhsa_group_segment_fixed_size 0
		.amdhsa_private_segment_fixed_size 64
		.amdhsa_kernarg_size 296
		.amdhsa_user_sgpr_count 15
		.amdhsa_user_sgpr_dispatch_ptr 0
		.amdhsa_user_sgpr_queue_ptr 0
		.amdhsa_user_sgpr_kernarg_segment_ptr 1
		.amdhsa_user_sgpr_dispatch_id 0
		.amdhsa_user_sgpr_private_segment_size 0
		.amdhsa_wavefront_size32 1
		.amdhsa_uses_dynamic_stack 0
		.amdhsa_enable_private_segment 1
		.amdhsa_system_sgpr_workgroup_id_x 1
		.amdhsa_system_sgpr_workgroup_id_y 0
		.amdhsa_system_sgpr_workgroup_id_z 0
		.amdhsa_system_sgpr_workgroup_info 0
		.amdhsa_system_vgpr_workitem_id 0
		.amdhsa_next_free_vgpr 50
		.amdhsa_next_free_sgpr 34
		.amdhsa_reserve_vcc 1
		.amdhsa_float_round_mode_32 0
		.amdhsa_float_round_mode_16_64 0
		.amdhsa_float_denorm_mode_32 3
		.amdhsa_float_denorm_mode_16_64 3
		.amdhsa_dx10_clamp 1
		.amdhsa_ieee_mode 1
		.amdhsa_fp16_overflow 0
		.amdhsa_workgroup_processor_mode 1
		.amdhsa_memory_ordered 1
		.amdhsa_forward_progress 0
		.amdhsa_shared_vgpr_count 0
		.amdhsa_exception_fp_ieee_invalid_op 0
		.amdhsa_exception_fp_denorm_src 0
		.amdhsa_exception_fp_ieee_div_zero 0
		.amdhsa_exception_fp_ieee_overflow 0
		.amdhsa_exception_fp_ieee_underflow 0
		.amdhsa_exception_fp_ieee_inexact 0
		.amdhsa_exception_int_div_zero 0
	.end_amdhsa_kernel
	.section	.text._ZN5aiter16wvSplitK_hf_sml_I6__halfLi64ELi4ELi16ELi8ELi1ELi4EEEviiPKT_S4_PS2_ii,"axG",@progbits,_ZN5aiter16wvSplitK_hf_sml_I6__halfLi64ELi4ELi16ELi8ELi1ELi4EEEviiPKT_S4_PS2_ii,comdat
.Lfunc_end53:
	.size	_ZN5aiter16wvSplitK_hf_sml_I6__halfLi64ELi4ELi16ELi8ELi1ELi4EEEviiPKT_S4_PS2_ii, .Lfunc_end53-_ZN5aiter16wvSplitK_hf_sml_I6__halfLi64ELi4ELi16ELi8ELi1ELi4EEEviiPKT_S4_PS2_ii
                                        ; -- End function
	.section	.AMDGPU.csdata,"",@progbits
; Kernel info:
; codeLenInByte = 76
; NumSgprs: 36
; NumVgprs: 50
; ScratchSize: 64
; MemoryBound: 0
; FloatMode: 240
; IeeeMode: 1
; LDSByteSize: 0 bytes/workgroup (compile time only)
; SGPRBlocks: 4
; VGPRBlocks: 6
; NumSGPRsForWavesPerEU: 36
; NumVGPRsForWavesPerEU: 50
; Occupancy: 16
; WaveLimiterHint : 1
; COMPUTE_PGM_RSRC2:SCRATCH_EN: 1
; COMPUTE_PGM_RSRC2:USER_SGPR: 15
; COMPUTE_PGM_RSRC2:TRAP_HANDLER: 0
; COMPUTE_PGM_RSRC2:TGID_X_EN: 1
; COMPUTE_PGM_RSRC2:TGID_Y_EN: 0
; COMPUTE_PGM_RSRC2:TGID_Z_EN: 0
; COMPUTE_PGM_RSRC2:TIDIG_COMP_CNT: 0
	.section	.text._ZN5aiter12wvSplitK_hf_I6__halfLi64ELi7ELi16ELi8ELi1ELi4EEEviiPKT_S4_PS2_ii,"axG",@progbits,_ZN5aiter12wvSplitK_hf_I6__halfLi64ELi7ELi16ELi8ELi1ELi4EEEviiPKT_S4_PS2_ii,comdat
	.protected	_ZN5aiter12wvSplitK_hf_I6__halfLi64ELi7ELi16ELi8ELi1ELi4EEEviiPKT_S4_PS2_ii ; -- Begin function _ZN5aiter12wvSplitK_hf_I6__halfLi64ELi7ELi16ELi8ELi1ELi4EEEviiPKT_S4_PS2_ii
	.globl	_ZN5aiter12wvSplitK_hf_I6__halfLi64ELi7ELi16ELi8ELi1ELi4EEEviiPKT_S4_PS2_ii
	.p2align	8
	.type	_ZN5aiter12wvSplitK_hf_I6__halfLi64ELi7ELi16ELi8ELi1ELi4EEEviiPKT_S4_PS2_ii,@function
_ZN5aiter12wvSplitK_hf_I6__halfLi64ELi7ELi16ELi8ELi1ELi4EEEviiPKT_S4_PS2_ii: ; @_ZN5aiter12wvSplitK_hf_I6__halfLi64ELi7ELi16ELi8ELi1ELi4EEEviiPKT_S4_PS2_ii
; %bb.0:
	s_add_u32 s8, s0, 40
	s_addc_u32 s9, s1, 0
	s_getpc_b64 s[0:1]
	s_add_u32 s0, s0, __PRETTY_FUNCTION__._ZN5aiter12wvSplitK_hf_I6__halfLi64ELi7ELi16ELi8ELi1ELi4EEEviiPKT_S4_PS2_ii@rel32@lo+4
	s_addc_u32 s1, s1, __PRETTY_FUNCTION__._ZN5aiter12wvSplitK_hf_I6__halfLi64ELi7ELi16ELi8ELi1ELi4EEEviiPKT_S4_PS2_ii@rel32@hi+12
	v_dual_mov_b32 v0, 0x4e1 :: v_dual_mov_b32 v1, s0
	v_mov_b32_e32 v2, s1
	s_mov_b32 s32, 0
	s_getpc_b64 s[2:3]
	s_add_u32 s2, s2, __assert_fail@rel32@lo+4
	s_addc_u32 s3, s3, __assert_fail@rel32@hi+12
	s_delay_alu instid0(SALU_CYCLE_1)
	s_swappc_b64 s[30:31], s[2:3]
	.section	.rodata,"a",@progbits
	.p2align	6, 0x0
	.amdhsa_kernel _ZN5aiter12wvSplitK_hf_I6__halfLi64ELi7ELi16ELi8ELi1ELi4EEEviiPKT_S4_PS2_ii
		.amdhsa_group_segment_fixed_size 0
		.amdhsa_private_segment_fixed_size 64
		.amdhsa_kernarg_size 296
		.amdhsa_user_sgpr_count 15
		.amdhsa_user_sgpr_dispatch_ptr 0
		.amdhsa_user_sgpr_queue_ptr 0
		.amdhsa_user_sgpr_kernarg_segment_ptr 1
		.amdhsa_user_sgpr_dispatch_id 0
		.amdhsa_user_sgpr_private_segment_size 0
		.amdhsa_wavefront_size32 1
		.amdhsa_uses_dynamic_stack 0
		.amdhsa_enable_private_segment 1
		.amdhsa_system_sgpr_workgroup_id_x 1
		.amdhsa_system_sgpr_workgroup_id_y 0
		.amdhsa_system_sgpr_workgroup_id_z 0
		.amdhsa_system_sgpr_workgroup_info 0
		.amdhsa_system_vgpr_workitem_id 0
		.amdhsa_next_free_vgpr 50
		.amdhsa_next_free_sgpr 34
		.amdhsa_reserve_vcc 1
		.amdhsa_float_round_mode_32 0
		.amdhsa_float_round_mode_16_64 0
		.amdhsa_float_denorm_mode_32 3
		.amdhsa_float_denorm_mode_16_64 3
		.amdhsa_dx10_clamp 1
		.amdhsa_ieee_mode 1
		.amdhsa_fp16_overflow 0
		.amdhsa_workgroup_processor_mode 1
		.amdhsa_memory_ordered 1
		.amdhsa_forward_progress 0
		.amdhsa_shared_vgpr_count 0
		.amdhsa_exception_fp_ieee_invalid_op 0
		.amdhsa_exception_fp_denorm_src 0
		.amdhsa_exception_fp_ieee_div_zero 0
		.amdhsa_exception_fp_ieee_overflow 0
		.amdhsa_exception_fp_ieee_underflow 0
		.amdhsa_exception_fp_ieee_inexact 0
		.amdhsa_exception_int_div_zero 0
	.end_amdhsa_kernel
	.section	.text._ZN5aiter12wvSplitK_hf_I6__halfLi64ELi7ELi16ELi8ELi1ELi4EEEviiPKT_S4_PS2_ii,"axG",@progbits,_ZN5aiter12wvSplitK_hf_I6__halfLi64ELi7ELi16ELi8ELi1ELi4EEEviiPKT_S4_PS2_ii,comdat
.Lfunc_end54:
	.size	_ZN5aiter12wvSplitK_hf_I6__halfLi64ELi7ELi16ELi8ELi1ELi4EEEviiPKT_S4_PS2_ii, .Lfunc_end54-_ZN5aiter12wvSplitK_hf_I6__halfLi64ELi7ELi16ELi8ELi1ELi4EEEviiPKT_S4_PS2_ii
                                        ; -- End function
	.section	.AMDGPU.csdata,"",@progbits
; Kernel info:
; codeLenInByte = 76
; NumSgprs: 36
; NumVgprs: 50
; ScratchSize: 64
; MemoryBound: 0
; FloatMode: 240
; IeeeMode: 1
; LDSByteSize: 0 bytes/workgroup (compile time only)
; SGPRBlocks: 4
; VGPRBlocks: 6
; NumSGPRsForWavesPerEU: 36
; NumVGPRsForWavesPerEU: 50
; Occupancy: 16
; WaveLimiterHint : 1
; COMPUTE_PGM_RSRC2:SCRATCH_EN: 1
; COMPUTE_PGM_RSRC2:USER_SGPR: 15
; COMPUTE_PGM_RSRC2:TRAP_HANDLER: 0
; COMPUTE_PGM_RSRC2:TGID_X_EN: 1
; COMPUTE_PGM_RSRC2:TGID_Y_EN: 0
; COMPUTE_PGM_RSRC2:TGID_Z_EN: 0
; COMPUTE_PGM_RSRC2:TIDIG_COMP_CNT: 0
	.section	.text._ZN5aiter16wvSplitK_hf_big_I6__halfLi64ELi7ELi16ELi8ELi1ELi4EEEviiPKT_S4_PS2_ii,"axG",@progbits,_ZN5aiter16wvSplitK_hf_big_I6__halfLi64ELi7ELi16ELi8ELi1ELi4EEEviiPKT_S4_PS2_ii,comdat
	.protected	_ZN5aiter16wvSplitK_hf_big_I6__halfLi64ELi7ELi16ELi8ELi1ELi4EEEviiPKT_S4_PS2_ii ; -- Begin function _ZN5aiter16wvSplitK_hf_big_I6__halfLi64ELi7ELi16ELi8ELi1ELi4EEEviiPKT_S4_PS2_ii
	.globl	_ZN5aiter16wvSplitK_hf_big_I6__halfLi64ELi7ELi16ELi8ELi1ELi4EEEviiPKT_S4_PS2_ii
	.p2align	8
	.type	_ZN5aiter16wvSplitK_hf_big_I6__halfLi64ELi7ELi16ELi8ELi1ELi4EEEviiPKT_S4_PS2_ii,@function
_ZN5aiter16wvSplitK_hf_big_I6__halfLi64ELi7ELi16ELi8ELi1ELi4EEEviiPKT_S4_PS2_ii: ; @_ZN5aiter16wvSplitK_hf_big_I6__halfLi64ELi7ELi16ELi8ELi1ELi4EEEviiPKT_S4_PS2_ii
; %bb.0:
	s_add_u32 s8, s0, 40
	s_addc_u32 s9, s1, 0
	s_getpc_b64 s[0:1]
	s_add_u32 s0, s0, __PRETTY_FUNCTION__._ZN5aiter16wvSplitK_hf_big_I6__halfLi64ELi7ELi16ELi8ELi1ELi4EEEviiPKT_S4_PS2_ii@rel32@lo+4
	s_addc_u32 s1, s1, __PRETTY_FUNCTION__._ZN5aiter16wvSplitK_hf_big_I6__halfLi64ELi7ELi16ELi8ELi1ELi4EEEviiPKT_S4_PS2_ii@rel32@hi+12
	v_dual_mov_b32 v0, 0x64f :: v_dual_mov_b32 v1, s0
	v_mov_b32_e32 v2, s1
	s_mov_b32 s32, 0
	s_getpc_b64 s[2:3]
	s_add_u32 s2, s2, __assert_fail@rel32@lo+4
	s_addc_u32 s3, s3, __assert_fail@rel32@hi+12
	s_delay_alu instid0(SALU_CYCLE_1)
	s_swappc_b64 s[30:31], s[2:3]
	.section	.rodata,"a",@progbits
	.p2align	6, 0x0
	.amdhsa_kernel _ZN5aiter16wvSplitK_hf_big_I6__halfLi64ELi7ELi16ELi8ELi1ELi4EEEviiPKT_S4_PS2_ii
		.amdhsa_group_segment_fixed_size 0
		.amdhsa_private_segment_fixed_size 64
		.amdhsa_kernarg_size 296
		.amdhsa_user_sgpr_count 15
		.amdhsa_user_sgpr_dispatch_ptr 0
		.amdhsa_user_sgpr_queue_ptr 0
		.amdhsa_user_sgpr_kernarg_segment_ptr 1
		.amdhsa_user_sgpr_dispatch_id 0
		.amdhsa_user_sgpr_private_segment_size 0
		.amdhsa_wavefront_size32 1
		.amdhsa_uses_dynamic_stack 0
		.amdhsa_enable_private_segment 1
		.amdhsa_system_sgpr_workgroup_id_x 1
		.amdhsa_system_sgpr_workgroup_id_y 0
		.amdhsa_system_sgpr_workgroup_id_z 0
		.amdhsa_system_sgpr_workgroup_info 0
		.amdhsa_system_vgpr_workitem_id 0
		.amdhsa_next_free_vgpr 50
		.amdhsa_next_free_sgpr 34
		.amdhsa_reserve_vcc 1
		.amdhsa_float_round_mode_32 0
		.amdhsa_float_round_mode_16_64 0
		.amdhsa_float_denorm_mode_32 3
		.amdhsa_float_denorm_mode_16_64 3
		.amdhsa_dx10_clamp 1
		.amdhsa_ieee_mode 1
		.amdhsa_fp16_overflow 0
		.amdhsa_workgroup_processor_mode 1
		.amdhsa_memory_ordered 1
		.amdhsa_forward_progress 0
		.amdhsa_shared_vgpr_count 0
		.amdhsa_exception_fp_ieee_invalid_op 0
		.amdhsa_exception_fp_denorm_src 0
		.amdhsa_exception_fp_ieee_div_zero 0
		.amdhsa_exception_fp_ieee_overflow 0
		.amdhsa_exception_fp_ieee_underflow 0
		.amdhsa_exception_fp_ieee_inexact 0
		.amdhsa_exception_int_div_zero 0
	.end_amdhsa_kernel
	.section	.text._ZN5aiter16wvSplitK_hf_big_I6__halfLi64ELi7ELi16ELi8ELi1ELi4EEEviiPKT_S4_PS2_ii,"axG",@progbits,_ZN5aiter16wvSplitK_hf_big_I6__halfLi64ELi7ELi16ELi8ELi1ELi4EEEviiPKT_S4_PS2_ii,comdat
.Lfunc_end55:
	.size	_ZN5aiter16wvSplitK_hf_big_I6__halfLi64ELi7ELi16ELi8ELi1ELi4EEEviiPKT_S4_PS2_ii, .Lfunc_end55-_ZN5aiter16wvSplitK_hf_big_I6__halfLi64ELi7ELi16ELi8ELi1ELi4EEEviiPKT_S4_PS2_ii
                                        ; -- End function
	.section	.AMDGPU.csdata,"",@progbits
; Kernel info:
; codeLenInByte = 76
; NumSgprs: 36
; NumVgprs: 50
; ScratchSize: 64
; MemoryBound: 0
; FloatMode: 240
; IeeeMode: 1
; LDSByteSize: 0 bytes/workgroup (compile time only)
; SGPRBlocks: 4
; VGPRBlocks: 6
; NumSGPRsForWavesPerEU: 36
; NumVGPRsForWavesPerEU: 50
; Occupancy: 16
; WaveLimiterHint : 1
; COMPUTE_PGM_RSRC2:SCRATCH_EN: 1
; COMPUTE_PGM_RSRC2:USER_SGPR: 15
; COMPUTE_PGM_RSRC2:TRAP_HANDLER: 0
; COMPUTE_PGM_RSRC2:TGID_X_EN: 1
; COMPUTE_PGM_RSRC2:TGID_Y_EN: 0
; COMPUTE_PGM_RSRC2:TGID_Z_EN: 0
; COMPUTE_PGM_RSRC2:TIDIG_COMP_CNT: 0
	.section	.text._ZN5aiter16wvSplitK_hf_sml_I14__hip_bfloat16Li64ELi2ELi16ELi8ELi2ELi1EEEviiPKT_S4_PS2_ii,"axG",@progbits,_ZN5aiter16wvSplitK_hf_sml_I14__hip_bfloat16Li64ELi2ELi16ELi8ELi2ELi1EEEviiPKT_S4_PS2_ii,comdat
	.protected	_ZN5aiter16wvSplitK_hf_sml_I14__hip_bfloat16Li64ELi2ELi16ELi8ELi2ELi1EEEviiPKT_S4_PS2_ii ; -- Begin function _ZN5aiter16wvSplitK_hf_sml_I14__hip_bfloat16Li64ELi2ELi16ELi8ELi2ELi1EEEviiPKT_S4_PS2_ii
	.globl	_ZN5aiter16wvSplitK_hf_sml_I14__hip_bfloat16Li64ELi2ELi16ELi8ELi2ELi1EEEviiPKT_S4_PS2_ii
	.p2align	8
	.type	_ZN5aiter16wvSplitK_hf_sml_I14__hip_bfloat16Li64ELi2ELi16ELi8ELi2ELi1EEEviiPKT_S4_PS2_ii,@function
_ZN5aiter16wvSplitK_hf_sml_I14__hip_bfloat16Li64ELi2ELi16ELi8ELi2ELi1EEEviiPKT_S4_PS2_ii: ; @_ZN5aiter16wvSplitK_hf_sml_I14__hip_bfloat16Li64ELi2ELi16ELi8ELi2ELi1EEEviiPKT_S4_PS2_ii
; %bb.0:
	s_add_u32 s8, s0, 40
	s_addc_u32 s9, s1, 0
	s_getpc_b64 s[0:1]
	s_add_u32 s0, s0, __PRETTY_FUNCTION__._ZN5aiter16wvSplitK_hf_sml_I14__hip_bfloat16Li64ELi2ELi16ELi8ELi2ELi1EEEviiPKT_S4_PS2_ii@rel32@lo+4
	s_addc_u32 s1, s1, __PRETTY_FUNCTION__._ZN5aiter16wvSplitK_hf_sml_I14__hip_bfloat16Li64ELi2ELi16ELi8ELi2ELi1EEEviiPKT_S4_PS2_ii@rel32@hi+12
	v_dual_mov_b32 v0, 0x3ae :: v_dual_mov_b32 v1, s0
	v_mov_b32_e32 v2, s1
	s_mov_b32 s32, 0
	s_getpc_b64 s[2:3]
	s_add_u32 s2, s2, __assert_fail@rel32@lo+4
	s_addc_u32 s3, s3, __assert_fail@rel32@hi+12
	s_delay_alu instid0(SALU_CYCLE_1)
	s_swappc_b64 s[30:31], s[2:3]
	.section	.rodata,"a",@progbits
	.p2align	6, 0x0
	.amdhsa_kernel _ZN5aiter16wvSplitK_hf_sml_I14__hip_bfloat16Li64ELi2ELi16ELi8ELi2ELi1EEEviiPKT_S4_PS2_ii
		.amdhsa_group_segment_fixed_size 0
		.amdhsa_private_segment_fixed_size 64
		.amdhsa_kernarg_size 296
		.amdhsa_user_sgpr_count 15
		.amdhsa_user_sgpr_dispatch_ptr 0
		.amdhsa_user_sgpr_queue_ptr 0
		.amdhsa_user_sgpr_kernarg_segment_ptr 1
		.amdhsa_user_sgpr_dispatch_id 0
		.amdhsa_user_sgpr_private_segment_size 0
		.amdhsa_wavefront_size32 1
		.amdhsa_uses_dynamic_stack 0
		.amdhsa_enable_private_segment 1
		.amdhsa_system_sgpr_workgroup_id_x 1
		.amdhsa_system_sgpr_workgroup_id_y 0
		.amdhsa_system_sgpr_workgroup_id_z 0
		.amdhsa_system_sgpr_workgroup_info 0
		.amdhsa_system_vgpr_workitem_id 0
		.amdhsa_next_free_vgpr 50
		.amdhsa_next_free_sgpr 34
		.amdhsa_reserve_vcc 1
		.amdhsa_float_round_mode_32 0
		.amdhsa_float_round_mode_16_64 0
		.amdhsa_float_denorm_mode_32 3
		.amdhsa_float_denorm_mode_16_64 3
		.amdhsa_dx10_clamp 1
		.amdhsa_ieee_mode 1
		.amdhsa_fp16_overflow 0
		.amdhsa_workgroup_processor_mode 1
		.amdhsa_memory_ordered 1
		.amdhsa_forward_progress 0
		.amdhsa_shared_vgpr_count 0
		.amdhsa_exception_fp_ieee_invalid_op 0
		.amdhsa_exception_fp_denorm_src 0
		.amdhsa_exception_fp_ieee_div_zero 0
		.amdhsa_exception_fp_ieee_overflow 0
		.amdhsa_exception_fp_ieee_underflow 0
		.amdhsa_exception_fp_ieee_inexact 0
		.amdhsa_exception_int_div_zero 0
	.end_amdhsa_kernel
	.section	.text._ZN5aiter16wvSplitK_hf_sml_I14__hip_bfloat16Li64ELi2ELi16ELi8ELi2ELi1EEEviiPKT_S4_PS2_ii,"axG",@progbits,_ZN5aiter16wvSplitK_hf_sml_I14__hip_bfloat16Li64ELi2ELi16ELi8ELi2ELi1EEEviiPKT_S4_PS2_ii,comdat
.Lfunc_end56:
	.size	_ZN5aiter16wvSplitK_hf_sml_I14__hip_bfloat16Li64ELi2ELi16ELi8ELi2ELi1EEEviiPKT_S4_PS2_ii, .Lfunc_end56-_ZN5aiter16wvSplitK_hf_sml_I14__hip_bfloat16Li64ELi2ELi16ELi8ELi2ELi1EEEviiPKT_S4_PS2_ii
                                        ; -- End function
	.section	.AMDGPU.csdata,"",@progbits
; Kernel info:
; codeLenInByte = 76
; NumSgprs: 36
; NumVgprs: 50
; ScratchSize: 64
; MemoryBound: 0
; FloatMode: 240
; IeeeMode: 1
; LDSByteSize: 0 bytes/workgroup (compile time only)
; SGPRBlocks: 4
; VGPRBlocks: 6
; NumSGPRsForWavesPerEU: 36
; NumVGPRsForWavesPerEU: 50
; Occupancy: 16
; WaveLimiterHint : 1
; COMPUTE_PGM_RSRC2:SCRATCH_EN: 1
; COMPUTE_PGM_RSRC2:USER_SGPR: 15
; COMPUTE_PGM_RSRC2:TRAP_HANDLER: 0
; COMPUTE_PGM_RSRC2:TGID_X_EN: 1
; COMPUTE_PGM_RSRC2:TGID_Y_EN: 0
; COMPUTE_PGM_RSRC2:TGID_Z_EN: 0
; COMPUTE_PGM_RSRC2:TIDIG_COMP_CNT: 0
	.section	.text._ZN5aiter12wvSplitK_hf_I14__hip_bfloat16Li64ELi2ELi16ELi8ELi2ELi1EEEviiPKT_S4_PS2_ii,"axG",@progbits,_ZN5aiter12wvSplitK_hf_I14__hip_bfloat16Li64ELi2ELi16ELi8ELi2ELi1EEEviiPKT_S4_PS2_ii,comdat
	.protected	_ZN5aiter12wvSplitK_hf_I14__hip_bfloat16Li64ELi2ELi16ELi8ELi2ELi1EEEviiPKT_S4_PS2_ii ; -- Begin function _ZN5aiter12wvSplitK_hf_I14__hip_bfloat16Li64ELi2ELi16ELi8ELi2ELi1EEEviiPKT_S4_PS2_ii
	.globl	_ZN5aiter12wvSplitK_hf_I14__hip_bfloat16Li64ELi2ELi16ELi8ELi2ELi1EEEviiPKT_S4_PS2_ii
	.p2align	8
	.type	_ZN5aiter12wvSplitK_hf_I14__hip_bfloat16Li64ELi2ELi16ELi8ELi2ELi1EEEviiPKT_S4_PS2_ii,@function
_ZN5aiter12wvSplitK_hf_I14__hip_bfloat16Li64ELi2ELi16ELi8ELi2ELi1EEEviiPKT_S4_PS2_ii: ; @_ZN5aiter12wvSplitK_hf_I14__hip_bfloat16Li64ELi2ELi16ELi8ELi2ELi1EEEviiPKT_S4_PS2_ii
; %bb.0:
	s_add_u32 s8, s0, 40
	s_addc_u32 s9, s1, 0
	s_getpc_b64 s[0:1]
	s_add_u32 s0, s0, __PRETTY_FUNCTION__._ZN5aiter12wvSplitK_hf_I14__hip_bfloat16Li64ELi2ELi16ELi8ELi2ELi1EEEviiPKT_S4_PS2_ii@rel32@lo+4
	s_addc_u32 s1, s1, __PRETTY_FUNCTION__._ZN5aiter12wvSplitK_hf_I14__hip_bfloat16Li64ELi2ELi16ELi8ELi2ELi1EEEviiPKT_S4_PS2_ii@rel32@hi+12
	v_dual_mov_b32 v0, 0x4e1 :: v_dual_mov_b32 v1, s0
	v_mov_b32_e32 v2, s1
	s_mov_b32 s32, 0
	s_getpc_b64 s[2:3]
	s_add_u32 s2, s2, __assert_fail@rel32@lo+4
	s_addc_u32 s3, s3, __assert_fail@rel32@hi+12
	s_delay_alu instid0(SALU_CYCLE_1)
	s_swappc_b64 s[30:31], s[2:3]
	.section	.rodata,"a",@progbits
	.p2align	6, 0x0
	.amdhsa_kernel _ZN5aiter12wvSplitK_hf_I14__hip_bfloat16Li64ELi2ELi16ELi8ELi2ELi1EEEviiPKT_S4_PS2_ii
		.amdhsa_group_segment_fixed_size 0
		.amdhsa_private_segment_fixed_size 64
		.amdhsa_kernarg_size 296
		.amdhsa_user_sgpr_count 15
		.amdhsa_user_sgpr_dispatch_ptr 0
		.amdhsa_user_sgpr_queue_ptr 0
		.amdhsa_user_sgpr_kernarg_segment_ptr 1
		.amdhsa_user_sgpr_dispatch_id 0
		.amdhsa_user_sgpr_private_segment_size 0
		.amdhsa_wavefront_size32 1
		.amdhsa_uses_dynamic_stack 0
		.amdhsa_enable_private_segment 1
		.amdhsa_system_sgpr_workgroup_id_x 1
		.amdhsa_system_sgpr_workgroup_id_y 0
		.amdhsa_system_sgpr_workgroup_id_z 0
		.amdhsa_system_sgpr_workgroup_info 0
		.amdhsa_system_vgpr_workitem_id 0
		.amdhsa_next_free_vgpr 50
		.amdhsa_next_free_sgpr 34
		.amdhsa_reserve_vcc 1
		.amdhsa_float_round_mode_32 0
		.amdhsa_float_round_mode_16_64 0
		.amdhsa_float_denorm_mode_32 3
		.amdhsa_float_denorm_mode_16_64 3
		.amdhsa_dx10_clamp 1
		.amdhsa_ieee_mode 1
		.amdhsa_fp16_overflow 0
		.amdhsa_workgroup_processor_mode 1
		.amdhsa_memory_ordered 1
		.amdhsa_forward_progress 0
		.amdhsa_shared_vgpr_count 0
		.amdhsa_exception_fp_ieee_invalid_op 0
		.amdhsa_exception_fp_denorm_src 0
		.amdhsa_exception_fp_ieee_div_zero 0
		.amdhsa_exception_fp_ieee_overflow 0
		.amdhsa_exception_fp_ieee_underflow 0
		.amdhsa_exception_fp_ieee_inexact 0
		.amdhsa_exception_int_div_zero 0
	.end_amdhsa_kernel
	.section	.text._ZN5aiter12wvSplitK_hf_I14__hip_bfloat16Li64ELi2ELi16ELi8ELi2ELi1EEEviiPKT_S4_PS2_ii,"axG",@progbits,_ZN5aiter12wvSplitK_hf_I14__hip_bfloat16Li64ELi2ELi16ELi8ELi2ELi1EEEviiPKT_S4_PS2_ii,comdat
.Lfunc_end57:
	.size	_ZN5aiter12wvSplitK_hf_I14__hip_bfloat16Li64ELi2ELi16ELi8ELi2ELi1EEEviiPKT_S4_PS2_ii, .Lfunc_end57-_ZN5aiter12wvSplitK_hf_I14__hip_bfloat16Li64ELi2ELi16ELi8ELi2ELi1EEEviiPKT_S4_PS2_ii
                                        ; -- End function
	.section	.AMDGPU.csdata,"",@progbits
; Kernel info:
; codeLenInByte = 76
; NumSgprs: 36
; NumVgprs: 50
; ScratchSize: 64
; MemoryBound: 0
; FloatMode: 240
; IeeeMode: 1
; LDSByteSize: 0 bytes/workgroup (compile time only)
; SGPRBlocks: 4
; VGPRBlocks: 6
; NumSGPRsForWavesPerEU: 36
; NumVGPRsForWavesPerEU: 50
; Occupancy: 16
; WaveLimiterHint : 1
; COMPUTE_PGM_RSRC2:SCRATCH_EN: 1
; COMPUTE_PGM_RSRC2:USER_SGPR: 15
; COMPUTE_PGM_RSRC2:TRAP_HANDLER: 0
; COMPUTE_PGM_RSRC2:TGID_X_EN: 1
; COMPUTE_PGM_RSRC2:TGID_Y_EN: 0
; COMPUTE_PGM_RSRC2:TGID_Z_EN: 0
; COMPUTE_PGM_RSRC2:TIDIG_COMP_CNT: 0
	.section	.text._ZN5aiter16wvSplitK_hf_big_I14__hip_bfloat16Li64ELi2ELi16ELi8ELi2ELi1EEEviiPKT_S4_PS2_ii,"axG",@progbits,_ZN5aiter16wvSplitK_hf_big_I14__hip_bfloat16Li64ELi2ELi16ELi8ELi2ELi1EEEviiPKT_S4_PS2_ii,comdat
	.protected	_ZN5aiter16wvSplitK_hf_big_I14__hip_bfloat16Li64ELi2ELi16ELi8ELi2ELi1EEEviiPKT_S4_PS2_ii ; -- Begin function _ZN5aiter16wvSplitK_hf_big_I14__hip_bfloat16Li64ELi2ELi16ELi8ELi2ELi1EEEviiPKT_S4_PS2_ii
	.globl	_ZN5aiter16wvSplitK_hf_big_I14__hip_bfloat16Li64ELi2ELi16ELi8ELi2ELi1EEEviiPKT_S4_PS2_ii
	.p2align	8
	.type	_ZN5aiter16wvSplitK_hf_big_I14__hip_bfloat16Li64ELi2ELi16ELi8ELi2ELi1EEEviiPKT_S4_PS2_ii,@function
_ZN5aiter16wvSplitK_hf_big_I14__hip_bfloat16Li64ELi2ELi16ELi8ELi2ELi1EEEviiPKT_S4_PS2_ii: ; @_ZN5aiter16wvSplitK_hf_big_I14__hip_bfloat16Li64ELi2ELi16ELi8ELi2ELi1EEEviiPKT_S4_PS2_ii
; %bb.0:
	s_add_u32 s8, s0, 40
	s_addc_u32 s9, s1, 0
	s_getpc_b64 s[0:1]
	s_add_u32 s0, s0, __PRETTY_FUNCTION__._ZN5aiter16wvSplitK_hf_big_I14__hip_bfloat16Li64ELi2ELi16ELi8ELi2ELi1EEEviiPKT_S4_PS2_ii@rel32@lo+4
	s_addc_u32 s1, s1, __PRETTY_FUNCTION__._ZN5aiter16wvSplitK_hf_big_I14__hip_bfloat16Li64ELi2ELi16ELi8ELi2ELi1EEEviiPKT_S4_PS2_ii@rel32@hi+12
	v_dual_mov_b32 v0, 0x64f :: v_dual_mov_b32 v1, s0
	v_mov_b32_e32 v2, s1
	s_mov_b32 s32, 0
	s_getpc_b64 s[2:3]
	s_add_u32 s2, s2, __assert_fail@rel32@lo+4
	s_addc_u32 s3, s3, __assert_fail@rel32@hi+12
	s_delay_alu instid0(SALU_CYCLE_1)
	s_swappc_b64 s[30:31], s[2:3]
	.section	.rodata,"a",@progbits
	.p2align	6, 0x0
	.amdhsa_kernel _ZN5aiter16wvSplitK_hf_big_I14__hip_bfloat16Li64ELi2ELi16ELi8ELi2ELi1EEEviiPKT_S4_PS2_ii
		.amdhsa_group_segment_fixed_size 0
		.amdhsa_private_segment_fixed_size 64
		.amdhsa_kernarg_size 296
		.amdhsa_user_sgpr_count 15
		.amdhsa_user_sgpr_dispatch_ptr 0
		.amdhsa_user_sgpr_queue_ptr 0
		.amdhsa_user_sgpr_kernarg_segment_ptr 1
		.amdhsa_user_sgpr_dispatch_id 0
		.amdhsa_user_sgpr_private_segment_size 0
		.amdhsa_wavefront_size32 1
		.amdhsa_uses_dynamic_stack 0
		.amdhsa_enable_private_segment 1
		.amdhsa_system_sgpr_workgroup_id_x 1
		.amdhsa_system_sgpr_workgroup_id_y 0
		.amdhsa_system_sgpr_workgroup_id_z 0
		.amdhsa_system_sgpr_workgroup_info 0
		.amdhsa_system_vgpr_workitem_id 0
		.amdhsa_next_free_vgpr 50
		.amdhsa_next_free_sgpr 34
		.amdhsa_reserve_vcc 1
		.amdhsa_float_round_mode_32 0
		.amdhsa_float_round_mode_16_64 0
		.amdhsa_float_denorm_mode_32 3
		.amdhsa_float_denorm_mode_16_64 3
		.amdhsa_dx10_clamp 1
		.amdhsa_ieee_mode 1
		.amdhsa_fp16_overflow 0
		.amdhsa_workgroup_processor_mode 1
		.amdhsa_memory_ordered 1
		.amdhsa_forward_progress 0
		.amdhsa_shared_vgpr_count 0
		.amdhsa_exception_fp_ieee_invalid_op 0
		.amdhsa_exception_fp_denorm_src 0
		.amdhsa_exception_fp_ieee_div_zero 0
		.amdhsa_exception_fp_ieee_overflow 0
		.amdhsa_exception_fp_ieee_underflow 0
		.amdhsa_exception_fp_ieee_inexact 0
		.amdhsa_exception_int_div_zero 0
	.end_amdhsa_kernel
	.section	.text._ZN5aiter16wvSplitK_hf_big_I14__hip_bfloat16Li64ELi2ELi16ELi8ELi2ELi1EEEviiPKT_S4_PS2_ii,"axG",@progbits,_ZN5aiter16wvSplitK_hf_big_I14__hip_bfloat16Li64ELi2ELi16ELi8ELi2ELi1EEEviiPKT_S4_PS2_ii,comdat
.Lfunc_end58:
	.size	_ZN5aiter16wvSplitK_hf_big_I14__hip_bfloat16Li64ELi2ELi16ELi8ELi2ELi1EEEviiPKT_S4_PS2_ii, .Lfunc_end58-_ZN5aiter16wvSplitK_hf_big_I14__hip_bfloat16Li64ELi2ELi16ELi8ELi2ELi1EEEviiPKT_S4_PS2_ii
                                        ; -- End function
	.section	.AMDGPU.csdata,"",@progbits
; Kernel info:
; codeLenInByte = 76
; NumSgprs: 36
; NumVgprs: 50
; ScratchSize: 64
; MemoryBound: 0
; FloatMode: 240
; IeeeMode: 1
; LDSByteSize: 0 bytes/workgroup (compile time only)
; SGPRBlocks: 4
; VGPRBlocks: 6
; NumSGPRsForWavesPerEU: 36
; NumVGPRsForWavesPerEU: 50
; Occupancy: 16
; WaveLimiterHint : 1
; COMPUTE_PGM_RSRC2:SCRATCH_EN: 1
; COMPUTE_PGM_RSRC2:USER_SGPR: 15
; COMPUTE_PGM_RSRC2:TRAP_HANDLER: 0
; COMPUTE_PGM_RSRC2:TGID_X_EN: 1
; COMPUTE_PGM_RSRC2:TGID_Y_EN: 0
; COMPUTE_PGM_RSRC2:TGID_Z_EN: 0
; COMPUTE_PGM_RSRC2:TIDIG_COMP_CNT: 0
	.section	.text._ZN5aiter16wvSplitK_hf_sml_I14__hip_bfloat16Li64ELi2ELi16ELi8ELi2ELi2EEEviiPKT_S4_PS2_ii,"axG",@progbits,_ZN5aiter16wvSplitK_hf_sml_I14__hip_bfloat16Li64ELi2ELi16ELi8ELi2ELi2EEEviiPKT_S4_PS2_ii,comdat
	.protected	_ZN5aiter16wvSplitK_hf_sml_I14__hip_bfloat16Li64ELi2ELi16ELi8ELi2ELi2EEEviiPKT_S4_PS2_ii ; -- Begin function _ZN5aiter16wvSplitK_hf_sml_I14__hip_bfloat16Li64ELi2ELi16ELi8ELi2ELi2EEEviiPKT_S4_PS2_ii
	.globl	_ZN5aiter16wvSplitK_hf_sml_I14__hip_bfloat16Li64ELi2ELi16ELi8ELi2ELi2EEEviiPKT_S4_PS2_ii
	.p2align	8
	.type	_ZN5aiter16wvSplitK_hf_sml_I14__hip_bfloat16Li64ELi2ELi16ELi8ELi2ELi2EEEviiPKT_S4_PS2_ii,@function
_ZN5aiter16wvSplitK_hf_sml_I14__hip_bfloat16Li64ELi2ELi16ELi8ELi2ELi2EEEviiPKT_S4_PS2_ii: ; @_ZN5aiter16wvSplitK_hf_sml_I14__hip_bfloat16Li64ELi2ELi16ELi8ELi2ELi2EEEviiPKT_S4_PS2_ii
; %bb.0:
	s_add_u32 s8, s0, 40
	s_addc_u32 s9, s1, 0
	s_getpc_b64 s[0:1]
	s_add_u32 s0, s0, __PRETTY_FUNCTION__._ZN5aiter16wvSplitK_hf_sml_I14__hip_bfloat16Li64ELi2ELi16ELi8ELi2ELi2EEEviiPKT_S4_PS2_ii@rel32@lo+4
	s_addc_u32 s1, s1, __PRETTY_FUNCTION__._ZN5aiter16wvSplitK_hf_sml_I14__hip_bfloat16Li64ELi2ELi16ELi8ELi2ELi2EEEviiPKT_S4_PS2_ii@rel32@hi+12
	v_dual_mov_b32 v0, 0x3ae :: v_dual_mov_b32 v1, s0
	v_mov_b32_e32 v2, s1
	s_mov_b32 s32, 0
	s_getpc_b64 s[2:3]
	s_add_u32 s2, s2, __assert_fail@rel32@lo+4
	s_addc_u32 s3, s3, __assert_fail@rel32@hi+12
	s_delay_alu instid0(SALU_CYCLE_1)
	s_swappc_b64 s[30:31], s[2:3]
	.section	.rodata,"a",@progbits
	.p2align	6, 0x0
	.amdhsa_kernel _ZN5aiter16wvSplitK_hf_sml_I14__hip_bfloat16Li64ELi2ELi16ELi8ELi2ELi2EEEviiPKT_S4_PS2_ii
		.amdhsa_group_segment_fixed_size 0
		.amdhsa_private_segment_fixed_size 64
		.amdhsa_kernarg_size 296
		.amdhsa_user_sgpr_count 15
		.amdhsa_user_sgpr_dispatch_ptr 0
		.amdhsa_user_sgpr_queue_ptr 0
		.amdhsa_user_sgpr_kernarg_segment_ptr 1
		.amdhsa_user_sgpr_dispatch_id 0
		.amdhsa_user_sgpr_private_segment_size 0
		.amdhsa_wavefront_size32 1
		.amdhsa_uses_dynamic_stack 0
		.amdhsa_enable_private_segment 1
		.amdhsa_system_sgpr_workgroup_id_x 1
		.amdhsa_system_sgpr_workgroup_id_y 0
		.amdhsa_system_sgpr_workgroup_id_z 0
		.amdhsa_system_sgpr_workgroup_info 0
		.amdhsa_system_vgpr_workitem_id 0
		.amdhsa_next_free_vgpr 50
		.amdhsa_next_free_sgpr 34
		.amdhsa_reserve_vcc 1
		.amdhsa_float_round_mode_32 0
		.amdhsa_float_round_mode_16_64 0
		.amdhsa_float_denorm_mode_32 3
		.amdhsa_float_denorm_mode_16_64 3
		.amdhsa_dx10_clamp 1
		.amdhsa_ieee_mode 1
		.amdhsa_fp16_overflow 0
		.amdhsa_workgroup_processor_mode 1
		.amdhsa_memory_ordered 1
		.amdhsa_forward_progress 0
		.amdhsa_shared_vgpr_count 0
		.amdhsa_exception_fp_ieee_invalid_op 0
		.amdhsa_exception_fp_denorm_src 0
		.amdhsa_exception_fp_ieee_div_zero 0
		.amdhsa_exception_fp_ieee_overflow 0
		.amdhsa_exception_fp_ieee_underflow 0
		.amdhsa_exception_fp_ieee_inexact 0
		.amdhsa_exception_int_div_zero 0
	.end_amdhsa_kernel
	.section	.text._ZN5aiter16wvSplitK_hf_sml_I14__hip_bfloat16Li64ELi2ELi16ELi8ELi2ELi2EEEviiPKT_S4_PS2_ii,"axG",@progbits,_ZN5aiter16wvSplitK_hf_sml_I14__hip_bfloat16Li64ELi2ELi16ELi8ELi2ELi2EEEviiPKT_S4_PS2_ii,comdat
.Lfunc_end59:
	.size	_ZN5aiter16wvSplitK_hf_sml_I14__hip_bfloat16Li64ELi2ELi16ELi8ELi2ELi2EEEviiPKT_S4_PS2_ii, .Lfunc_end59-_ZN5aiter16wvSplitK_hf_sml_I14__hip_bfloat16Li64ELi2ELi16ELi8ELi2ELi2EEEviiPKT_S4_PS2_ii
                                        ; -- End function
	.section	.AMDGPU.csdata,"",@progbits
; Kernel info:
; codeLenInByte = 76
; NumSgprs: 36
; NumVgprs: 50
; ScratchSize: 64
; MemoryBound: 0
; FloatMode: 240
; IeeeMode: 1
; LDSByteSize: 0 bytes/workgroup (compile time only)
; SGPRBlocks: 4
; VGPRBlocks: 6
; NumSGPRsForWavesPerEU: 36
; NumVGPRsForWavesPerEU: 50
; Occupancy: 16
; WaveLimiterHint : 1
; COMPUTE_PGM_RSRC2:SCRATCH_EN: 1
; COMPUTE_PGM_RSRC2:USER_SGPR: 15
; COMPUTE_PGM_RSRC2:TRAP_HANDLER: 0
; COMPUTE_PGM_RSRC2:TGID_X_EN: 1
; COMPUTE_PGM_RSRC2:TGID_Y_EN: 0
; COMPUTE_PGM_RSRC2:TGID_Z_EN: 0
; COMPUTE_PGM_RSRC2:TIDIG_COMP_CNT: 0
	.section	.text._ZN5aiter12wvSplitK_hf_I14__hip_bfloat16Li64ELi2ELi16ELi8ELi2ELi2EEEviiPKT_S4_PS2_ii,"axG",@progbits,_ZN5aiter12wvSplitK_hf_I14__hip_bfloat16Li64ELi2ELi16ELi8ELi2ELi2EEEviiPKT_S4_PS2_ii,comdat
	.protected	_ZN5aiter12wvSplitK_hf_I14__hip_bfloat16Li64ELi2ELi16ELi8ELi2ELi2EEEviiPKT_S4_PS2_ii ; -- Begin function _ZN5aiter12wvSplitK_hf_I14__hip_bfloat16Li64ELi2ELi16ELi8ELi2ELi2EEEviiPKT_S4_PS2_ii
	.globl	_ZN5aiter12wvSplitK_hf_I14__hip_bfloat16Li64ELi2ELi16ELi8ELi2ELi2EEEviiPKT_S4_PS2_ii
	.p2align	8
	.type	_ZN5aiter12wvSplitK_hf_I14__hip_bfloat16Li64ELi2ELi16ELi8ELi2ELi2EEEviiPKT_S4_PS2_ii,@function
_ZN5aiter12wvSplitK_hf_I14__hip_bfloat16Li64ELi2ELi16ELi8ELi2ELi2EEEviiPKT_S4_PS2_ii: ; @_ZN5aiter12wvSplitK_hf_I14__hip_bfloat16Li64ELi2ELi16ELi8ELi2ELi2EEEviiPKT_S4_PS2_ii
; %bb.0:
	s_add_u32 s8, s0, 40
	s_addc_u32 s9, s1, 0
	s_getpc_b64 s[0:1]
	s_add_u32 s0, s0, __PRETTY_FUNCTION__._ZN5aiter12wvSplitK_hf_I14__hip_bfloat16Li64ELi2ELi16ELi8ELi2ELi2EEEviiPKT_S4_PS2_ii@rel32@lo+4
	s_addc_u32 s1, s1, __PRETTY_FUNCTION__._ZN5aiter12wvSplitK_hf_I14__hip_bfloat16Li64ELi2ELi16ELi8ELi2ELi2EEEviiPKT_S4_PS2_ii@rel32@hi+12
	v_dual_mov_b32 v0, 0x4e1 :: v_dual_mov_b32 v1, s0
	v_mov_b32_e32 v2, s1
	s_mov_b32 s32, 0
	s_getpc_b64 s[2:3]
	s_add_u32 s2, s2, __assert_fail@rel32@lo+4
	s_addc_u32 s3, s3, __assert_fail@rel32@hi+12
	s_delay_alu instid0(SALU_CYCLE_1)
	s_swappc_b64 s[30:31], s[2:3]
	.section	.rodata,"a",@progbits
	.p2align	6, 0x0
	.amdhsa_kernel _ZN5aiter12wvSplitK_hf_I14__hip_bfloat16Li64ELi2ELi16ELi8ELi2ELi2EEEviiPKT_S4_PS2_ii
		.amdhsa_group_segment_fixed_size 0
		.amdhsa_private_segment_fixed_size 64
		.amdhsa_kernarg_size 296
		.amdhsa_user_sgpr_count 15
		.amdhsa_user_sgpr_dispatch_ptr 0
		.amdhsa_user_sgpr_queue_ptr 0
		.amdhsa_user_sgpr_kernarg_segment_ptr 1
		.amdhsa_user_sgpr_dispatch_id 0
		.amdhsa_user_sgpr_private_segment_size 0
		.amdhsa_wavefront_size32 1
		.amdhsa_uses_dynamic_stack 0
		.amdhsa_enable_private_segment 1
		.amdhsa_system_sgpr_workgroup_id_x 1
		.amdhsa_system_sgpr_workgroup_id_y 0
		.amdhsa_system_sgpr_workgroup_id_z 0
		.amdhsa_system_sgpr_workgroup_info 0
		.amdhsa_system_vgpr_workitem_id 0
		.amdhsa_next_free_vgpr 50
		.amdhsa_next_free_sgpr 34
		.amdhsa_reserve_vcc 1
		.amdhsa_float_round_mode_32 0
		.amdhsa_float_round_mode_16_64 0
		.amdhsa_float_denorm_mode_32 3
		.amdhsa_float_denorm_mode_16_64 3
		.amdhsa_dx10_clamp 1
		.amdhsa_ieee_mode 1
		.amdhsa_fp16_overflow 0
		.amdhsa_workgroup_processor_mode 1
		.amdhsa_memory_ordered 1
		.amdhsa_forward_progress 0
		.amdhsa_shared_vgpr_count 0
		.amdhsa_exception_fp_ieee_invalid_op 0
		.amdhsa_exception_fp_denorm_src 0
		.amdhsa_exception_fp_ieee_div_zero 0
		.amdhsa_exception_fp_ieee_overflow 0
		.amdhsa_exception_fp_ieee_underflow 0
		.amdhsa_exception_fp_ieee_inexact 0
		.amdhsa_exception_int_div_zero 0
	.end_amdhsa_kernel
	.section	.text._ZN5aiter12wvSplitK_hf_I14__hip_bfloat16Li64ELi2ELi16ELi8ELi2ELi2EEEviiPKT_S4_PS2_ii,"axG",@progbits,_ZN5aiter12wvSplitK_hf_I14__hip_bfloat16Li64ELi2ELi16ELi8ELi2ELi2EEEviiPKT_S4_PS2_ii,comdat
.Lfunc_end60:
	.size	_ZN5aiter12wvSplitK_hf_I14__hip_bfloat16Li64ELi2ELi16ELi8ELi2ELi2EEEviiPKT_S4_PS2_ii, .Lfunc_end60-_ZN5aiter12wvSplitK_hf_I14__hip_bfloat16Li64ELi2ELi16ELi8ELi2ELi2EEEviiPKT_S4_PS2_ii
                                        ; -- End function
	.section	.AMDGPU.csdata,"",@progbits
; Kernel info:
; codeLenInByte = 76
; NumSgprs: 36
; NumVgprs: 50
; ScratchSize: 64
; MemoryBound: 0
; FloatMode: 240
; IeeeMode: 1
; LDSByteSize: 0 bytes/workgroup (compile time only)
; SGPRBlocks: 4
; VGPRBlocks: 6
; NumSGPRsForWavesPerEU: 36
; NumVGPRsForWavesPerEU: 50
; Occupancy: 16
; WaveLimiterHint : 1
; COMPUTE_PGM_RSRC2:SCRATCH_EN: 1
; COMPUTE_PGM_RSRC2:USER_SGPR: 15
; COMPUTE_PGM_RSRC2:TRAP_HANDLER: 0
; COMPUTE_PGM_RSRC2:TGID_X_EN: 1
; COMPUTE_PGM_RSRC2:TGID_Y_EN: 0
; COMPUTE_PGM_RSRC2:TGID_Z_EN: 0
; COMPUTE_PGM_RSRC2:TIDIG_COMP_CNT: 0
	.section	.text._ZN5aiter16wvSplitK_hf_big_I14__hip_bfloat16Li64ELi2ELi16ELi8ELi2ELi2EEEviiPKT_S4_PS2_ii,"axG",@progbits,_ZN5aiter16wvSplitK_hf_big_I14__hip_bfloat16Li64ELi2ELi16ELi8ELi2ELi2EEEviiPKT_S4_PS2_ii,comdat
	.protected	_ZN5aiter16wvSplitK_hf_big_I14__hip_bfloat16Li64ELi2ELi16ELi8ELi2ELi2EEEviiPKT_S4_PS2_ii ; -- Begin function _ZN5aiter16wvSplitK_hf_big_I14__hip_bfloat16Li64ELi2ELi16ELi8ELi2ELi2EEEviiPKT_S4_PS2_ii
	.globl	_ZN5aiter16wvSplitK_hf_big_I14__hip_bfloat16Li64ELi2ELi16ELi8ELi2ELi2EEEviiPKT_S4_PS2_ii
	.p2align	8
	.type	_ZN5aiter16wvSplitK_hf_big_I14__hip_bfloat16Li64ELi2ELi16ELi8ELi2ELi2EEEviiPKT_S4_PS2_ii,@function
_ZN5aiter16wvSplitK_hf_big_I14__hip_bfloat16Li64ELi2ELi16ELi8ELi2ELi2EEEviiPKT_S4_PS2_ii: ; @_ZN5aiter16wvSplitK_hf_big_I14__hip_bfloat16Li64ELi2ELi16ELi8ELi2ELi2EEEviiPKT_S4_PS2_ii
; %bb.0:
	s_add_u32 s8, s0, 40
	s_addc_u32 s9, s1, 0
	s_getpc_b64 s[0:1]
	s_add_u32 s0, s0, __PRETTY_FUNCTION__._ZN5aiter16wvSplitK_hf_big_I14__hip_bfloat16Li64ELi2ELi16ELi8ELi2ELi2EEEviiPKT_S4_PS2_ii@rel32@lo+4
	s_addc_u32 s1, s1, __PRETTY_FUNCTION__._ZN5aiter16wvSplitK_hf_big_I14__hip_bfloat16Li64ELi2ELi16ELi8ELi2ELi2EEEviiPKT_S4_PS2_ii@rel32@hi+12
	v_dual_mov_b32 v0, 0x64f :: v_dual_mov_b32 v1, s0
	v_mov_b32_e32 v2, s1
	s_mov_b32 s32, 0
	s_getpc_b64 s[2:3]
	s_add_u32 s2, s2, __assert_fail@rel32@lo+4
	s_addc_u32 s3, s3, __assert_fail@rel32@hi+12
	s_delay_alu instid0(SALU_CYCLE_1)
	s_swappc_b64 s[30:31], s[2:3]
	.section	.rodata,"a",@progbits
	.p2align	6, 0x0
	.amdhsa_kernel _ZN5aiter16wvSplitK_hf_big_I14__hip_bfloat16Li64ELi2ELi16ELi8ELi2ELi2EEEviiPKT_S4_PS2_ii
		.amdhsa_group_segment_fixed_size 0
		.amdhsa_private_segment_fixed_size 64
		.amdhsa_kernarg_size 296
		.amdhsa_user_sgpr_count 15
		.amdhsa_user_sgpr_dispatch_ptr 0
		.amdhsa_user_sgpr_queue_ptr 0
		.amdhsa_user_sgpr_kernarg_segment_ptr 1
		.amdhsa_user_sgpr_dispatch_id 0
		.amdhsa_user_sgpr_private_segment_size 0
		.amdhsa_wavefront_size32 1
		.amdhsa_uses_dynamic_stack 0
		.amdhsa_enable_private_segment 1
		.amdhsa_system_sgpr_workgroup_id_x 1
		.amdhsa_system_sgpr_workgroup_id_y 0
		.amdhsa_system_sgpr_workgroup_id_z 0
		.amdhsa_system_sgpr_workgroup_info 0
		.amdhsa_system_vgpr_workitem_id 0
		.amdhsa_next_free_vgpr 50
		.amdhsa_next_free_sgpr 34
		.amdhsa_reserve_vcc 1
		.amdhsa_float_round_mode_32 0
		.amdhsa_float_round_mode_16_64 0
		.amdhsa_float_denorm_mode_32 3
		.amdhsa_float_denorm_mode_16_64 3
		.amdhsa_dx10_clamp 1
		.amdhsa_ieee_mode 1
		.amdhsa_fp16_overflow 0
		.amdhsa_workgroup_processor_mode 1
		.amdhsa_memory_ordered 1
		.amdhsa_forward_progress 0
		.amdhsa_shared_vgpr_count 0
		.amdhsa_exception_fp_ieee_invalid_op 0
		.amdhsa_exception_fp_denorm_src 0
		.amdhsa_exception_fp_ieee_div_zero 0
		.amdhsa_exception_fp_ieee_overflow 0
		.amdhsa_exception_fp_ieee_underflow 0
		.amdhsa_exception_fp_ieee_inexact 0
		.amdhsa_exception_int_div_zero 0
	.end_amdhsa_kernel
	.section	.text._ZN5aiter16wvSplitK_hf_big_I14__hip_bfloat16Li64ELi2ELi16ELi8ELi2ELi2EEEviiPKT_S4_PS2_ii,"axG",@progbits,_ZN5aiter16wvSplitK_hf_big_I14__hip_bfloat16Li64ELi2ELi16ELi8ELi2ELi2EEEviiPKT_S4_PS2_ii,comdat
.Lfunc_end61:
	.size	_ZN5aiter16wvSplitK_hf_big_I14__hip_bfloat16Li64ELi2ELi16ELi8ELi2ELi2EEEviiPKT_S4_PS2_ii, .Lfunc_end61-_ZN5aiter16wvSplitK_hf_big_I14__hip_bfloat16Li64ELi2ELi16ELi8ELi2ELi2EEEviiPKT_S4_PS2_ii
                                        ; -- End function
	.section	.AMDGPU.csdata,"",@progbits
; Kernel info:
; codeLenInByte = 76
; NumSgprs: 36
; NumVgprs: 50
; ScratchSize: 64
; MemoryBound: 0
; FloatMode: 240
; IeeeMode: 1
; LDSByteSize: 0 bytes/workgroup (compile time only)
; SGPRBlocks: 4
; VGPRBlocks: 6
; NumSGPRsForWavesPerEU: 36
; NumVGPRsForWavesPerEU: 50
; Occupancy: 16
; WaveLimiterHint : 1
; COMPUTE_PGM_RSRC2:SCRATCH_EN: 1
; COMPUTE_PGM_RSRC2:USER_SGPR: 15
; COMPUTE_PGM_RSRC2:TRAP_HANDLER: 0
; COMPUTE_PGM_RSRC2:TGID_X_EN: 1
; COMPUTE_PGM_RSRC2:TGID_Y_EN: 0
; COMPUTE_PGM_RSRC2:TGID_Z_EN: 0
; COMPUTE_PGM_RSRC2:TIDIG_COMP_CNT: 0
	.section	.text._ZN5aiter16wvSplitK_hf_sml_I14__hip_bfloat16Li64ELi4ELi16ELi8ELi1ELi3EEEviiPKT_S4_PS2_ii,"axG",@progbits,_ZN5aiter16wvSplitK_hf_sml_I14__hip_bfloat16Li64ELi4ELi16ELi8ELi1ELi3EEEviiPKT_S4_PS2_ii,comdat
	.protected	_ZN5aiter16wvSplitK_hf_sml_I14__hip_bfloat16Li64ELi4ELi16ELi8ELi1ELi3EEEviiPKT_S4_PS2_ii ; -- Begin function _ZN5aiter16wvSplitK_hf_sml_I14__hip_bfloat16Li64ELi4ELi16ELi8ELi1ELi3EEEviiPKT_S4_PS2_ii
	.globl	_ZN5aiter16wvSplitK_hf_sml_I14__hip_bfloat16Li64ELi4ELi16ELi8ELi1ELi3EEEviiPKT_S4_PS2_ii
	.p2align	8
	.type	_ZN5aiter16wvSplitK_hf_sml_I14__hip_bfloat16Li64ELi4ELi16ELi8ELi1ELi3EEEviiPKT_S4_PS2_ii,@function
_ZN5aiter16wvSplitK_hf_sml_I14__hip_bfloat16Li64ELi4ELi16ELi8ELi1ELi3EEEviiPKT_S4_PS2_ii: ; @_ZN5aiter16wvSplitK_hf_sml_I14__hip_bfloat16Li64ELi4ELi16ELi8ELi1ELi3EEEviiPKT_S4_PS2_ii
; %bb.0:
	s_add_u32 s8, s0, 40
	s_addc_u32 s9, s1, 0
	s_getpc_b64 s[0:1]
	s_add_u32 s0, s0, __PRETTY_FUNCTION__._ZN5aiter16wvSplitK_hf_sml_I14__hip_bfloat16Li64ELi4ELi16ELi8ELi1ELi3EEEviiPKT_S4_PS2_ii@rel32@lo+4
	s_addc_u32 s1, s1, __PRETTY_FUNCTION__._ZN5aiter16wvSplitK_hf_sml_I14__hip_bfloat16Li64ELi4ELi16ELi8ELi1ELi3EEEviiPKT_S4_PS2_ii@rel32@hi+12
	v_dual_mov_b32 v0, 0x3ae :: v_dual_mov_b32 v1, s0
	v_mov_b32_e32 v2, s1
	s_mov_b32 s32, 0
	s_getpc_b64 s[2:3]
	s_add_u32 s2, s2, __assert_fail@rel32@lo+4
	s_addc_u32 s3, s3, __assert_fail@rel32@hi+12
	s_delay_alu instid0(SALU_CYCLE_1)
	s_swappc_b64 s[30:31], s[2:3]
	.section	.rodata,"a",@progbits
	.p2align	6, 0x0
	.amdhsa_kernel _ZN5aiter16wvSplitK_hf_sml_I14__hip_bfloat16Li64ELi4ELi16ELi8ELi1ELi3EEEviiPKT_S4_PS2_ii
		.amdhsa_group_segment_fixed_size 0
		.amdhsa_private_segment_fixed_size 64
		.amdhsa_kernarg_size 296
		.amdhsa_user_sgpr_count 15
		.amdhsa_user_sgpr_dispatch_ptr 0
		.amdhsa_user_sgpr_queue_ptr 0
		.amdhsa_user_sgpr_kernarg_segment_ptr 1
		.amdhsa_user_sgpr_dispatch_id 0
		.amdhsa_user_sgpr_private_segment_size 0
		.amdhsa_wavefront_size32 1
		.amdhsa_uses_dynamic_stack 0
		.amdhsa_enable_private_segment 1
		.amdhsa_system_sgpr_workgroup_id_x 1
		.amdhsa_system_sgpr_workgroup_id_y 0
		.amdhsa_system_sgpr_workgroup_id_z 0
		.amdhsa_system_sgpr_workgroup_info 0
		.amdhsa_system_vgpr_workitem_id 0
		.amdhsa_next_free_vgpr 50
		.amdhsa_next_free_sgpr 34
		.amdhsa_reserve_vcc 1
		.amdhsa_float_round_mode_32 0
		.amdhsa_float_round_mode_16_64 0
		.amdhsa_float_denorm_mode_32 3
		.amdhsa_float_denorm_mode_16_64 3
		.amdhsa_dx10_clamp 1
		.amdhsa_ieee_mode 1
		.amdhsa_fp16_overflow 0
		.amdhsa_workgroup_processor_mode 1
		.amdhsa_memory_ordered 1
		.amdhsa_forward_progress 0
		.amdhsa_shared_vgpr_count 0
		.amdhsa_exception_fp_ieee_invalid_op 0
		.amdhsa_exception_fp_denorm_src 0
		.amdhsa_exception_fp_ieee_div_zero 0
		.amdhsa_exception_fp_ieee_overflow 0
		.amdhsa_exception_fp_ieee_underflow 0
		.amdhsa_exception_fp_ieee_inexact 0
		.amdhsa_exception_int_div_zero 0
	.end_amdhsa_kernel
	.section	.text._ZN5aiter16wvSplitK_hf_sml_I14__hip_bfloat16Li64ELi4ELi16ELi8ELi1ELi3EEEviiPKT_S4_PS2_ii,"axG",@progbits,_ZN5aiter16wvSplitK_hf_sml_I14__hip_bfloat16Li64ELi4ELi16ELi8ELi1ELi3EEEviiPKT_S4_PS2_ii,comdat
.Lfunc_end62:
	.size	_ZN5aiter16wvSplitK_hf_sml_I14__hip_bfloat16Li64ELi4ELi16ELi8ELi1ELi3EEEviiPKT_S4_PS2_ii, .Lfunc_end62-_ZN5aiter16wvSplitK_hf_sml_I14__hip_bfloat16Li64ELi4ELi16ELi8ELi1ELi3EEEviiPKT_S4_PS2_ii
                                        ; -- End function
	.section	.AMDGPU.csdata,"",@progbits
; Kernel info:
; codeLenInByte = 76
; NumSgprs: 36
; NumVgprs: 50
; ScratchSize: 64
; MemoryBound: 0
; FloatMode: 240
; IeeeMode: 1
; LDSByteSize: 0 bytes/workgroup (compile time only)
; SGPRBlocks: 4
; VGPRBlocks: 6
; NumSGPRsForWavesPerEU: 36
; NumVGPRsForWavesPerEU: 50
; Occupancy: 16
; WaveLimiterHint : 1
; COMPUTE_PGM_RSRC2:SCRATCH_EN: 1
; COMPUTE_PGM_RSRC2:USER_SGPR: 15
; COMPUTE_PGM_RSRC2:TRAP_HANDLER: 0
; COMPUTE_PGM_RSRC2:TGID_X_EN: 1
; COMPUTE_PGM_RSRC2:TGID_Y_EN: 0
; COMPUTE_PGM_RSRC2:TGID_Z_EN: 0
; COMPUTE_PGM_RSRC2:TIDIG_COMP_CNT: 0
	.section	.text._ZN5aiter12wvSplitK_hf_I14__hip_bfloat16Li64ELi7ELi16ELi8ELi1ELi3EEEviiPKT_S4_PS2_ii,"axG",@progbits,_ZN5aiter12wvSplitK_hf_I14__hip_bfloat16Li64ELi7ELi16ELi8ELi1ELi3EEEviiPKT_S4_PS2_ii,comdat
	.protected	_ZN5aiter12wvSplitK_hf_I14__hip_bfloat16Li64ELi7ELi16ELi8ELi1ELi3EEEviiPKT_S4_PS2_ii ; -- Begin function _ZN5aiter12wvSplitK_hf_I14__hip_bfloat16Li64ELi7ELi16ELi8ELi1ELi3EEEviiPKT_S4_PS2_ii
	.globl	_ZN5aiter12wvSplitK_hf_I14__hip_bfloat16Li64ELi7ELi16ELi8ELi1ELi3EEEviiPKT_S4_PS2_ii
	.p2align	8
	.type	_ZN5aiter12wvSplitK_hf_I14__hip_bfloat16Li64ELi7ELi16ELi8ELi1ELi3EEEviiPKT_S4_PS2_ii,@function
_ZN5aiter12wvSplitK_hf_I14__hip_bfloat16Li64ELi7ELi16ELi8ELi1ELi3EEEviiPKT_S4_PS2_ii: ; @_ZN5aiter12wvSplitK_hf_I14__hip_bfloat16Li64ELi7ELi16ELi8ELi1ELi3EEEviiPKT_S4_PS2_ii
; %bb.0:
	s_add_u32 s8, s0, 40
	s_addc_u32 s9, s1, 0
	s_getpc_b64 s[0:1]
	s_add_u32 s0, s0, __PRETTY_FUNCTION__._ZN5aiter12wvSplitK_hf_I14__hip_bfloat16Li64ELi7ELi16ELi8ELi1ELi3EEEviiPKT_S4_PS2_ii@rel32@lo+4
	s_addc_u32 s1, s1, __PRETTY_FUNCTION__._ZN5aiter12wvSplitK_hf_I14__hip_bfloat16Li64ELi7ELi16ELi8ELi1ELi3EEEviiPKT_S4_PS2_ii@rel32@hi+12
	v_dual_mov_b32 v0, 0x4e1 :: v_dual_mov_b32 v1, s0
	v_mov_b32_e32 v2, s1
	s_mov_b32 s32, 0
	s_getpc_b64 s[2:3]
	s_add_u32 s2, s2, __assert_fail@rel32@lo+4
	s_addc_u32 s3, s3, __assert_fail@rel32@hi+12
	s_delay_alu instid0(SALU_CYCLE_1)
	s_swappc_b64 s[30:31], s[2:3]
	.section	.rodata,"a",@progbits
	.p2align	6, 0x0
	.amdhsa_kernel _ZN5aiter12wvSplitK_hf_I14__hip_bfloat16Li64ELi7ELi16ELi8ELi1ELi3EEEviiPKT_S4_PS2_ii
		.amdhsa_group_segment_fixed_size 0
		.amdhsa_private_segment_fixed_size 64
		.amdhsa_kernarg_size 296
		.amdhsa_user_sgpr_count 15
		.amdhsa_user_sgpr_dispatch_ptr 0
		.amdhsa_user_sgpr_queue_ptr 0
		.amdhsa_user_sgpr_kernarg_segment_ptr 1
		.amdhsa_user_sgpr_dispatch_id 0
		.amdhsa_user_sgpr_private_segment_size 0
		.amdhsa_wavefront_size32 1
		.amdhsa_uses_dynamic_stack 0
		.amdhsa_enable_private_segment 1
		.amdhsa_system_sgpr_workgroup_id_x 1
		.amdhsa_system_sgpr_workgroup_id_y 0
		.amdhsa_system_sgpr_workgroup_id_z 0
		.amdhsa_system_sgpr_workgroup_info 0
		.amdhsa_system_vgpr_workitem_id 0
		.amdhsa_next_free_vgpr 50
		.amdhsa_next_free_sgpr 34
		.amdhsa_reserve_vcc 1
		.amdhsa_float_round_mode_32 0
		.amdhsa_float_round_mode_16_64 0
		.amdhsa_float_denorm_mode_32 3
		.amdhsa_float_denorm_mode_16_64 3
		.amdhsa_dx10_clamp 1
		.amdhsa_ieee_mode 1
		.amdhsa_fp16_overflow 0
		.amdhsa_workgroup_processor_mode 1
		.amdhsa_memory_ordered 1
		.amdhsa_forward_progress 0
		.amdhsa_shared_vgpr_count 0
		.amdhsa_exception_fp_ieee_invalid_op 0
		.amdhsa_exception_fp_denorm_src 0
		.amdhsa_exception_fp_ieee_div_zero 0
		.amdhsa_exception_fp_ieee_overflow 0
		.amdhsa_exception_fp_ieee_underflow 0
		.amdhsa_exception_fp_ieee_inexact 0
		.amdhsa_exception_int_div_zero 0
	.end_amdhsa_kernel
	.section	.text._ZN5aiter12wvSplitK_hf_I14__hip_bfloat16Li64ELi7ELi16ELi8ELi1ELi3EEEviiPKT_S4_PS2_ii,"axG",@progbits,_ZN5aiter12wvSplitK_hf_I14__hip_bfloat16Li64ELi7ELi16ELi8ELi1ELi3EEEviiPKT_S4_PS2_ii,comdat
.Lfunc_end63:
	.size	_ZN5aiter12wvSplitK_hf_I14__hip_bfloat16Li64ELi7ELi16ELi8ELi1ELi3EEEviiPKT_S4_PS2_ii, .Lfunc_end63-_ZN5aiter12wvSplitK_hf_I14__hip_bfloat16Li64ELi7ELi16ELi8ELi1ELi3EEEviiPKT_S4_PS2_ii
                                        ; -- End function
	.section	.AMDGPU.csdata,"",@progbits
; Kernel info:
; codeLenInByte = 76
; NumSgprs: 36
; NumVgprs: 50
; ScratchSize: 64
; MemoryBound: 0
; FloatMode: 240
; IeeeMode: 1
; LDSByteSize: 0 bytes/workgroup (compile time only)
; SGPRBlocks: 4
; VGPRBlocks: 6
; NumSGPRsForWavesPerEU: 36
; NumVGPRsForWavesPerEU: 50
; Occupancy: 16
; WaveLimiterHint : 1
; COMPUTE_PGM_RSRC2:SCRATCH_EN: 1
; COMPUTE_PGM_RSRC2:USER_SGPR: 15
; COMPUTE_PGM_RSRC2:TRAP_HANDLER: 0
; COMPUTE_PGM_RSRC2:TGID_X_EN: 1
; COMPUTE_PGM_RSRC2:TGID_Y_EN: 0
; COMPUTE_PGM_RSRC2:TGID_Z_EN: 0
; COMPUTE_PGM_RSRC2:TIDIG_COMP_CNT: 0
	.section	.text._ZN5aiter16wvSplitK_hf_big_I14__hip_bfloat16Li64ELi7ELi16ELi8ELi1ELi3EEEviiPKT_S4_PS2_ii,"axG",@progbits,_ZN5aiter16wvSplitK_hf_big_I14__hip_bfloat16Li64ELi7ELi16ELi8ELi1ELi3EEEviiPKT_S4_PS2_ii,comdat
	.protected	_ZN5aiter16wvSplitK_hf_big_I14__hip_bfloat16Li64ELi7ELi16ELi8ELi1ELi3EEEviiPKT_S4_PS2_ii ; -- Begin function _ZN5aiter16wvSplitK_hf_big_I14__hip_bfloat16Li64ELi7ELi16ELi8ELi1ELi3EEEviiPKT_S4_PS2_ii
	.globl	_ZN5aiter16wvSplitK_hf_big_I14__hip_bfloat16Li64ELi7ELi16ELi8ELi1ELi3EEEviiPKT_S4_PS2_ii
	.p2align	8
	.type	_ZN5aiter16wvSplitK_hf_big_I14__hip_bfloat16Li64ELi7ELi16ELi8ELi1ELi3EEEviiPKT_S4_PS2_ii,@function
_ZN5aiter16wvSplitK_hf_big_I14__hip_bfloat16Li64ELi7ELi16ELi8ELi1ELi3EEEviiPKT_S4_PS2_ii: ; @_ZN5aiter16wvSplitK_hf_big_I14__hip_bfloat16Li64ELi7ELi16ELi8ELi1ELi3EEEviiPKT_S4_PS2_ii
; %bb.0:
	s_add_u32 s8, s0, 40
	s_addc_u32 s9, s1, 0
	s_getpc_b64 s[0:1]
	s_add_u32 s0, s0, __PRETTY_FUNCTION__._ZN5aiter16wvSplitK_hf_big_I14__hip_bfloat16Li64ELi7ELi16ELi8ELi1ELi3EEEviiPKT_S4_PS2_ii@rel32@lo+4
	s_addc_u32 s1, s1, __PRETTY_FUNCTION__._ZN5aiter16wvSplitK_hf_big_I14__hip_bfloat16Li64ELi7ELi16ELi8ELi1ELi3EEEviiPKT_S4_PS2_ii@rel32@hi+12
	v_dual_mov_b32 v0, 0x64f :: v_dual_mov_b32 v1, s0
	v_mov_b32_e32 v2, s1
	s_mov_b32 s32, 0
	s_getpc_b64 s[2:3]
	s_add_u32 s2, s2, __assert_fail@rel32@lo+4
	s_addc_u32 s3, s3, __assert_fail@rel32@hi+12
	s_delay_alu instid0(SALU_CYCLE_1)
	s_swappc_b64 s[30:31], s[2:3]
	.section	.rodata,"a",@progbits
	.p2align	6, 0x0
	.amdhsa_kernel _ZN5aiter16wvSplitK_hf_big_I14__hip_bfloat16Li64ELi7ELi16ELi8ELi1ELi3EEEviiPKT_S4_PS2_ii
		.amdhsa_group_segment_fixed_size 0
		.amdhsa_private_segment_fixed_size 64
		.amdhsa_kernarg_size 296
		.amdhsa_user_sgpr_count 15
		.amdhsa_user_sgpr_dispatch_ptr 0
		.amdhsa_user_sgpr_queue_ptr 0
		.amdhsa_user_sgpr_kernarg_segment_ptr 1
		.amdhsa_user_sgpr_dispatch_id 0
		.amdhsa_user_sgpr_private_segment_size 0
		.amdhsa_wavefront_size32 1
		.amdhsa_uses_dynamic_stack 0
		.amdhsa_enable_private_segment 1
		.amdhsa_system_sgpr_workgroup_id_x 1
		.amdhsa_system_sgpr_workgroup_id_y 0
		.amdhsa_system_sgpr_workgroup_id_z 0
		.amdhsa_system_sgpr_workgroup_info 0
		.amdhsa_system_vgpr_workitem_id 0
		.amdhsa_next_free_vgpr 50
		.amdhsa_next_free_sgpr 34
		.amdhsa_reserve_vcc 1
		.amdhsa_float_round_mode_32 0
		.amdhsa_float_round_mode_16_64 0
		.amdhsa_float_denorm_mode_32 3
		.amdhsa_float_denorm_mode_16_64 3
		.amdhsa_dx10_clamp 1
		.amdhsa_ieee_mode 1
		.amdhsa_fp16_overflow 0
		.amdhsa_workgroup_processor_mode 1
		.amdhsa_memory_ordered 1
		.amdhsa_forward_progress 0
		.amdhsa_shared_vgpr_count 0
		.amdhsa_exception_fp_ieee_invalid_op 0
		.amdhsa_exception_fp_denorm_src 0
		.amdhsa_exception_fp_ieee_div_zero 0
		.amdhsa_exception_fp_ieee_overflow 0
		.amdhsa_exception_fp_ieee_underflow 0
		.amdhsa_exception_fp_ieee_inexact 0
		.amdhsa_exception_int_div_zero 0
	.end_amdhsa_kernel
	.section	.text._ZN5aiter16wvSplitK_hf_big_I14__hip_bfloat16Li64ELi7ELi16ELi8ELi1ELi3EEEviiPKT_S4_PS2_ii,"axG",@progbits,_ZN5aiter16wvSplitK_hf_big_I14__hip_bfloat16Li64ELi7ELi16ELi8ELi1ELi3EEEviiPKT_S4_PS2_ii,comdat
.Lfunc_end64:
	.size	_ZN5aiter16wvSplitK_hf_big_I14__hip_bfloat16Li64ELi7ELi16ELi8ELi1ELi3EEEviiPKT_S4_PS2_ii, .Lfunc_end64-_ZN5aiter16wvSplitK_hf_big_I14__hip_bfloat16Li64ELi7ELi16ELi8ELi1ELi3EEEviiPKT_S4_PS2_ii
                                        ; -- End function
	.section	.AMDGPU.csdata,"",@progbits
; Kernel info:
; codeLenInByte = 76
; NumSgprs: 36
; NumVgprs: 50
; ScratchSize: 64
; MemoryBound: 0
; FloatMode: 240
; IeeeMode: 1
; LDSByteSize: 0 bytes/workgroup (compile time only)
; SGPRBlocks: 4
; VGPRBlocks: 6
; NumSGPRsForWavesPerEU: 36
; NumVGPRsForWavesPerEU: 50
; Occupancy: 16
; WaveLimiterHint : 1
; COMPUTE_PGM_RSRC2:SCRATCH_EN: 1
; COMPUTE_PGM_RSRC2:USER_SGPR: 15
; COMPUTE_PGM_RSRC2:TRAP_HANDLER: 0
; COMPUTE_PGM_RSRC2:TGID_X_EN: 1
; COMPUTE_PGM_RSRC2:TGID_Y_EN: 0
; COMPUTE_PGM_RSRC2:TGID_Z_EN: 0
; COMPUTE_PGM_RSRC2:TIDIG_COMP_CNT: 0
	.section	.text._ZN5aiter16wvSplitK_hf_sml_I14__hip_bfloat16Li64ELi4ELi16ELi8ELi1ELi4EEEviiPKT_S4_PS2_ii,"axG",@progbits,_ZN5aiter16wvSplitK_hf_sml_I14__hip_bfloat16Li64ELi4ELi16ELi8ELi1ELi4EEEviiPKT_S4_PS2_ii,comdat
	.protected	_ZN5aiter16wvSplitK_hf_sml_I14__hip_bfloat16Li64ELi4ELi16ELi8ELi1ELi4EEEviiPKT_S4_PS2_ii ; -- Begin function _ZN5aiter16wvSplitK_hf_sml_I14__hip_bfloat16Li64ELi4ELi16ELi8ELi1ELi4EEEviiPKT_S4_PS2_ii
	.globl	_ZN5aiter16wvSplitK_hf_sml_I14__hip_bfloat16Li64ELi4ELi16ELi8ELi1ELi4EEEviiPKT_S4_PS2_ii
	.p2align	8
	.type	_ZN5aiter16wvSplitK_hf_sml_I14__hip_bfloat16Li64ELi4ELi16ELi8ELi1ELi4EEEviiPKT_S4_PS2_ii,@function
_ZN5aiter16wvSplitK_hf_sml_I14__hip_bfloat16Li64ELi4ELi16ELi8ELi1ELi4EEEviiPKT_S4_PS2_ii: ; @_ZN5aiter16wvSplitK_hf_sml_I14__hip_bfloat16Li64ELi4ELi16ELi8ELi1ELi4EEEviiPKT_S4_PS2_ii
; %bb.0:
	s_add_u32 s8, s0, 40
	s_addc_u32 s9, s1, 0
	s_getpc_b64 s[0:1]
	s_add_u32 s0, s0, __PRETTY_FUNCTION__._ZN5aiter16wvSplitK_hf_sml_I14__hip_bfloat16Li64ELi4ELi16ELi8ELi1ELi4EEEviiPKT_S4_PS2_ii@rel32@lo+4
	s_addc_u32 s1, s1, __PRETTY_FUNCTION__._ZN5aiter16wvSplitK_hf_sml_I14__hip_bfloat16Li64ELi4ELi16ELi8ELi1ELi4EEEviiPKT_S4_PS2_ii@rel32@hi+12
	v_dual_mov_b32 v0, 0x3ae :: v_dual_mov_b32 v1, s0
	v_mov_b32_e32 v2, s1
	s_mov_b32 s32, 0
	s_getpc_b64 s[2:3]
	s_add_u32 s2, s2, __assert_fail@rel32@lo+4
	s_addc_u32 s3, s3, __assert_fail@rel32@hi+12
	s_delay_alu instid0(SALU_CYCLE_1)
	s_swappc_b64 s[30:31], s[2:3]
	.section	.rodata,"a",@progbits
	.p2align	6, 0x0
	.amdhsa_kernel _ZN5aiter16wvSplitK_hf_sml_I14__hip_bfloat16Li64ELi4ELi16ELi8ELi1ELi4EEEviiPKT_S4_PS2_ii
		.amdhsa_group_segment_fixed_size 0
		.amdhsa_private_segment_fixed_size 64
		.amdhsa_kernarg_size 296
		.amdhsa_user_sgpr_count 15
		.amdhsa_user_sgpr_dispatch_ptr 0
		.amdhsa_user_sgpr_queue_ptr 0
		.amdhsa_user_sgpr_kernarg_segment_ptr 1
		.amdhsa_user_sgpr_dispatch_id 0
		.amdhsa_user_sgpr_private_segment_size 0
		.amdhsa_wavefront_size32 1
		.amdhsa_uses_dynamic_stack 0
		.amdhsa_enable_private_segment 1
		.amdhsa_system_sgpr_workgroup_id_x 1
		.amdhsa_system_sgpr_workgroup_id_y 0
		.amdhsa_system_sgpr_workgroup_id_z 0
		.amdhsa_system_sgpr_workgroup_info 0
		.amdhsa_system_vgpr_workitem_id 0
		.amdhsa_next_free_vgpr 50
		.amdhsa_next_free_sgpr 34
		.amdhsa_reserve_vcc 1
		.amdhsa_float_round_mode_32 0
		.amdhsa_float_round_mode_16_64 0
		.amdhsa_float_denorm_mode_32 3
		.amdhsa_float_denorm_mode_16_64 3
		.amdhsa_dx10_clamp 1
		.amdhsa_ieee_mode 1
		.amdhsa_fp16_overflow 0
		.amdhsa_workgroup_processor_mode 1
		.amdhsa_memory_ordered 1
		.amdhsa_forward_progress 0
		.amdhsa_shared_vgpr_count 0
		.amdhsa_exception_fp_ieee_invalid_op 0
		.amdhsa_exception_fp_denorm_src 0
		.amdhsa_exception_fp_ieee_div_zero 0
		.amdhsa_exception_fp_ieee_overflow 0
		.amdhsa_exception_fp_ieee_underflow 0
		.amdhsa_exception_fp_ieee_inexact 0
		.amdhsa_exception_int_div_zero 0
	.end_amdhsa_kernel
	.section	.text._ZN5aiter16wvSplitK_hf_sml_I14__hip_bfloat16Li64ELi4ELi16ELi8ELi1ELi4EEEviiPKT_S4_PS2_ii,"axG",@progbits,_ZN5aiter16wvSplitK_hf_sml_I14__hip_bfloat16Li64ELi4ELi16ELi8ELi1ELi4EEEviiPKT_S4_PS2_ii,comdat
.Lfunc_end65:
	.size	_ZN5aiter16wvSplitK_hf_sml_I14__hip_bfloat16Li64ELi4ELi16ELi8ELi1ELi4EEEviiPKT_S4_PS2_ii, .Lfunc_end65-_ZN5aiter16wvSplitK_hf_sml_I14__hip_bfloat16Li64ELi4ELi16ELi8ELi1ELi4EEEviiPKT_S4_PS2_ii
                                        ; -- End function
	.section	.AMDGPU.csdata,"",@progbits
; Kernel info:
; codeLenInByte = 76
; NumSgprs: 36
; NumVgprs: 50
; ScratchSize: 64
; MemoryBound: 0
; FloatMode: 240
; IeeeMode: 1
; LDSByteSize: 0 bytes/workgroup (compile time only)
; SGPRBlocks: 4
; VGPRBlocks: 6
; NumSGPRsForWavesPerEU: 36
; NumVGPRsForWavesPerEU: 50
; Occupancy: 16
; WaveLimiterHint : 1
; COMPUTE_PGM_RSRC2:SCRATCH_EN: 1
; COMPUTE_PGM_RSRC2:USER_SGPR: 15
; COMPUTE_PGM_RSRC2:TRAP_HANDLER: 0
; COMPUTE_PGM_RSRC2:TGID_X_EN: 1
; COMPUTE_PGM_RSRC2:TGID_Y_EN: 0
; COMPUTE_PGM_RSRC2:TGID_Z_EN: 0
; COMPUTE_PGM_RSRC2:TIDIG_COMP_CNT: 0
	.section	.text._ZN5aiter12wvSplitK_hf_I14__hip_bfloat16Li64ELi7ELi16ELi8ELi1ELi4EEEviiPKT_S4_PS2_ii,"axG",@progbits,_ZN5aiter12wvSplitK_hf_I14__hip_bfloat16Li64ELi7ELi16ELi8ELi1ELi4EEEviiPKT_S4_PS2_ii,comdat
	.protected	_ZN5aiter12wvSplitK_hf_I14__hip_bfloat16Li64ELi7ELi16ELi8ELi1ELi4EEEviiPKT_S4_PS2_ii ; -- Begin function _ZN5aiter12wvSplitK_hf_I14__hip_bfloat16Li64ELi7ELi16ELi8ELi1ELi4EEEviiPKT_S4_PS2_ii
	.globl	_ZN5aiter12wvSplitK_hf_I14__hip_bfloat16Li64ELi7ELi16ELi8ELi1ELi4EEEviiPKT_S4_PS2_ii
	.p2align	8
	.type	_ZN5aiter12wvSplitK_hf_I14__hip_bfloat16Li64ELi7ELi16ELi8ELi1ELi4EEEviiPKT_S4_PS2_ii,@function
_ZN5aiter12wvSplitK_hf_I14__hip_bfloat16Li64ELi7ELi16ELi8ELi1ELi4EEEviiPKT_S4_PS2_ii: ; @_ZN5aiter12wvSplitK_hf_I14__hip_bfloat16Li64ELi7ELi16ELi8ELi1ELi4EEEviiPKT_S4_PS2_ii
; %bb.0:
	s_add_u32 s8, s0, 40
	s_addc_u32 s9, s1, 0
	s_getpc_b64 s[0:1]
	s_add_u32 s0, s0, __PRETTY_FUNCTION__._ZN5aiter12wvSplitK_hf_I14__hip_bfloat16Li64ELi7ELi16ELi8ELi1ELi4EEEviiPKT_S4_PS2_ii@rel32@lo+4
	s_addc_u32 s1, s1, __PRETTY_FUNCTION__._ZN5aiter12wvSplitK_hf_I14__hip_bfloat16Li64ELi7ELi16ELi8ELi1ELi4EEEviiPKT_S4_PS2_ii@rel32@hi+12
	v_dual_mov_b32 v0, 0x4e1 :: v_dual_mov_b32 v1, s0
	v_mov_b32_e32 v2, s1
	s_mov_b32 s32, 0
	s_getpc_b64 s[2:3]
	s_add_u32 s2, s2, __assert_fail@rel32@lo+4
	s_addc_u32 s3, s3, __assert_fail@rel32@hi+12
	s_delay_alu instid0(SALU_CYCLE_1)
	s_swappc_b64 s[30:31], s[2:3]
	.section	.rodata,"a",@progbits
	.p2align	6, 0x0
	.amdhsa_kernel _ZN5aiter12wvSplitK_hf_I14__hip_bfloat16Li64ELi7ELi16ELi8ELi1ELi4EEEviiPKT_S4_PS2_ii
		.amdhsa_group_segment_fixed_size 0
		.amdhsa_private_segment_fixed_size 64
		.amdhsa_kernarg_size 296
		.amdhsa_user_sgpr_count 15
		.amdhsa_user_sgpr_dispatch_ptr 0
		.amdhsa_user_sgpr_queue_ptr 0
		.amdhsa_user_sgpr_kernarg_segment_ptr 1
		.amdhsa_user_sgpr_dispatch_id 0
		.amdhsa_user_sgpr_private_segment_size 0
		.amdhsa_wavefront_size32 1
		.amdhsa_uses_dynamic_stack 0
		.amdhsa_enable_private_segment 1
		.amdhsa_system_sgpr_workgroup_id_x 1
		.amdhsa_system_sgpr_workgroup_id_y 0
		.amdhsa_system_sgpr_workgroup_id_z 0
		.amdhsa_system_sgpr_workgroup_info 0
		.amdhsa_system_vgpr_workitem_id 0
		.amdhsa_next_free_vgpr 50
		.amdhsa_next_free_sgpr 34
		.amdhsa_reserve_vcc 1
		.amdhsa_float_round_mode_32 0
		.amdhsa_float_round_mode_16_64 0
		.amdhsa_float_denorm_mode_32 3
		.amdhsa_float_denorm_mode_16_64 3
		.amdhsa_dx10_clamp 1
		.amdhsa_ieee_mode 1
		.amdhsa_fp16_overflow 0
		.amdhsa_workgroup_processor_mode 1
		.amdhsa_memory_ordered 1
		.amdhsa_forward_progress 0
		.amdhsa_shared_vgpr_count 0
		.amdhsa_exception_fp_ieee_invalid_op 0
		.amdhsa_exception_fp_denorm_src 0
		.amdhsa_exception_fp_ieee_div_zero 0
		.amdhsa_exception_fp_ieee_overflow 0
		.amdhsa_exception_fp_ieee_underflow 0
		.amdhsa_exception_fp_ieee_inexact 0
		.amdhsa_exception_int_div_zero 0
	.end_amdhsa_kernel
	.section	.text._ZN5aiter12wvSplitK_hf_I14__hip_bfloat16Li64ELi7ELi16ELi8ELi1ELi4EEEviiPKT_S4_PS2_ii,"axG",@progbits,_ZN5aiter12wvSplitK_hf_I14__hip_bfloat16Li64ELi7ELi16ELi8ELi1ELi4EEEviiPKT_S4_PS2_ii,comdat
.Lfunc_end66:
	.size	_ZN5aiter12wvSplitK_hf_I14__hip_bfloat16Li64ELi7ELi16ELi8ELi1ELi4EEEviiPKT_S4_PS2_ii, .Lfunc_end66-_ZN5aiter12wvSplitK_hf_I14__hip_bfloat16Li64ELi7ELi16ELi8ELi1ELi4EEEviiPKT_S4_PS2_ii
                                        ; -- End function
	.section	.AMDGPU.csdata,"",@progbits
; Kernel info:
; codeLenInByte = 76
; NumSgprs: 36
; NumVgprs: 50
; ScratchSize: 64
; MemoryBound: 0
; FloatMode: 240
; IeeeMode: 1
; LDSByteSize: 0 bytes/workgroup (compile time only)
; SGPRBlocks: 4
; VGPRBlocks: 6
; NumSGPRsForWavesPerEU: 36
; NumVGPRsForWavesPerEU: 50
; Occupancy: 16
; WaveLimiterHint : 1
; COMPUTE_PGM_RSRC2:SCRATCH_EN: 1
; COMPUTE_PGM_RSRC2:USER_SGPR: 15
; COMPUTE_PGM_RSRC2:TRAP_HANDLER: 0
; COMPUTE_PGM_RSRC2:TGID_X_EN: 1
; COMPUTE_PGM_RSRC2:TGID_Y_EN: 0
; COMPUTE_PGM_RSRC2:TGID_Z_EN: 0
; COMPUTE_PGM_RSRC2:TIDIG_COMP_CNT: 0
	.section	.text._ZN5aiter16wvSplitK_hf_big_I14__hip_bfloat16Li64ELi7ELi16ELi8ELi1ELi4EEEviiPKT_S4_PS2_ii,"axG",@progbits,_ZN5aiter16wvSplitK_hf_big_I14__hip_bfloat16Li64ELi7ELi16ELi8ELi1ELi4EEEviiPKT_S4_PS2_ii,comdat
	.protected	_ZN5aiter16wvSplitK_hf_big_I14__hip_bfloat16Li64ELi7ELi16ELi8ELi1ELi4EEEviiPKT_S4_PS2_ii ; -- Begin function _ZN5aiter16wvSplitK_hf_big_I14__hip_bfloat16Li64ELi7ELi16ELi8ELi1ELi4EEEviiPKT_S4_PS2_ii
	.globl	_ZN5aiter16wvSplitK_hf_big_I14__hip_bfloat16Li64ELi7ELi16ELi8ELi1ELi4EEEviiPKT_S4_PS2_ii
	.p2align	8
	.type	_ZN5aiter16wvSplitK_hf_big_I14__hip_bfloat16Li64ELi7ELi16ELi8ELi1ELi4EEEviiPKT_S4_PS2_ii,@function
_ZN5aiter16wvSplitK_hf_big_I14__hip_bfloat16Li64ELi7ELi16ELi8ELi1ELi4EEEviiPKT_S4_PS2_ii: ; @_ZN5aiter16wvSplitK_hf_big_I14__hip_bfloat16Li64ELi7ELi16ELi8ELi1ELi4EEEviiPKT_S4_PS2_ii
; %bb.0:
	s_add_u32 s8, s0, 40
	s_addc_u32 s9, s1, 0
	s_getpc_b64 s[0:1]
	s_add_u32 s0, s0, __PRETTY_FUNCTION__._ZN5aiter16wvSplitK_hf_big_I14__hip_bfloat16Li64ELi7ELi16ELi8ELi1ELi4EEEviiPKT_S4_PS2_ii@rel32@lo+4
	s_addc_u32 s1, s1, __PRETTY_FUNCTION__._ZN5aiter16wvSplitK_hf_big_I14__hip_bfloat16Li64ELi7ELi16ELi8ELi1ELi4EEEviiPKT_S4_PS2_ii@rel32@hi+12
	v_dual_mov_b32 v0, 0x64f :: v_dual_mov_b32 v1, s0
	v_mov_b32_e32 v2, s1
	s_mov_b32 s32, 0
	s_getpc_b64 s[2:3]
	s_add_u32 s2, s2, __assert_fail@rel32@lo+4
	s_addc_u32 s3, s3, __assert_fail@rel32@hi+12
	s_delay_alu instid0(SALU_CYCLE_1)
	s_swappc_b64 s[30:31], s[2:3]
	.section	.rodata,"a",@progbits
	.p2align	6, 0x0
	.amdhsa_kernel _ZN5aiter16wvSplitK_hf_big_I14__hip_bfloat16Li64ELi7ELi16ELi8ELi1ELi4EEEviiPKT_S4_PS2_ii
		.amdhsa_group_segment_fixed_size 0
		.amdhsa_private_segment_fixed_size 64
		.amdhsa_kernarg_size 296
		.amdhsa_user_sgpr_count 15
		.amdhsa_user_sgpr_dispatch_ptr 0
		.amdhsa_user_sgpr_queue_ptr 0
		.amdhsa_user_sgpr_kernarg_segment_ptr 1
		.amdhsa_user_sgpr_dispatch_id 0
		.amdhsa_user_sgpr_private_segment_size 0
		.amdhsa_wavefront_size32 1
		.amdhsa_uses_dynamic_stack 0
		.amdhsa_enable_private_segment 1
		.amdhsa_system_sgpr_workgroup_id_x 1
		.amdhsa_system_sgpr_workgroup_id_y 0
		.amdhsa_system_sgpr_workgroup_id_z 0
		.amdhsa_system_sgpr_workgroup_info 0
		.amdhsa_system_vgpr_workitem_id 0
		.amdhsa_next_free_vgpr 50
		.amdhsa_next_free_sgpr 34
		.amdhsa_reserve_vcc 1
		.amdhsa_float_round_mode_32 0
		.amdhsa_float_round_mode_16_64 0
		.amdhsa_float_denorm_mode_32 3
		.amdhsa_float_denorm_mode_16_64 3
		.amdhsa_dx10_clamp 1
		.amdhsa_ieee_mode 1
		.amdhsa_fp16_overflow 0
		.amdhsa_workgroup_processor_mode 1
		.amdhsa_memory_ordered 1
		.amdhsa_forward_progress 0
		.amdhsa_shared_vgpr_count 0
		.amdhsa_exception_fp_ieee_invalid_op 0
		.amdhsa_exception_fp_denorm_src 0
		.amdhsa_exception_fp_ieee_div_zero 0
		.amdhsa_exception_fp_ieee_overflow 0
		.amdhsa_exception_fp_ieee_underflow 0
		.amdhsa_exception_fp_ieee_inexact 0
		.amdhsa_exception_int_div_zero 0
	.end_amdhsa_kernel
	.section	.text._ZN5aiter16wvSplitK_hf_big_I14__hip_bfloat16Li64ELi7ELi16ELi8ELi1ELi4EEEviiPKT_S4_PS2_ii,"axG",@progbits,_ZN5aiter16wvSplitK_hf_big_I14__hip_bfloat16Li64ELi7ELi16ELi8ELi1ELi4EEEviiPKT_S4_PS2_ii,comdat
.Lfunc_end67:
	.size	_ZN5aiter16wvSplitK_hf_big_I14__hip_bfloat16Li64ELi7ELi16ELi8ELi1ELi4EEEviiPKT_S4_PS2_ii, .Lfunc_end67-_ZN5aiter16wvSplitK_hf_big_I14__hip_bfloat16Li64ELi7ELi16ELi8ELi1ELi4EEEviiPKT_S4_PS2_ii
                                        ; -- End function
	.section	.AMDGPU.csdata,"",@progbits
; Kernel info:
; codeLenInByte = 76
; NumSgprs: 36
; NumVgprs: 50
; ScratchSize: 64
; MemoryBound: 0
; FloatMode: 240
; IeeeMode: 1
; LDSByteSize: 0 bytes/workgroup (compile time only)
; SGPRBlocks: 4
; VGPRBlocks: 6
; NumSGPRsForWavesPerEU: 36
; NumVGPRsForWavesPerEU: 50
; Occupancy: 16
; WaveLimiterHint : 1
; COMPUTE_PGM_RSRC2:SCRATCH_EN: 1
; COMPUTE_PGM_RSRC2:USER_SGPR: 15
; COMPUTE_PGM_RSRC2:TRAP_HANDLER: 0
; COMPUTE_PGM_RSRC2:TGID_X_EN: 1
; COMPUTE_PGM_RSRC2:TGID_Y_EN: 0
; COMPUTE_PGM_RSRC2:TGID_Z_EN: 0
; COMPUTE_PGM_RSRC2:TIDIG_COMP_CNT: 0
	.section	.text._ZN5aiter17wvSplitKQ_hf_sml_I6__halfhLi64ELi2ELi16ELi16ELi2ELi1EEEviiiPKT0_S4_PT_PKfS8_ii,"axG",@progbits,_ZN5aiter17wvSplitKQ_hf_sml_I6__halfhLi64ELi2ELi16ELi16ELi2ELi1EEEviiiPKT0_S4_PT_PKfS8_ii,comdat
	.protected	_ZN5aiter17wvSplitKQ_hf_sml_I6__halfhLi64ELi2ELi16ELi16ELi2ELi1EEEviiiPKT0_S4_PT_PKfS8_ii ; -- Begin function _ZN5aiter17wvSplitKQ_hf_sml_I6__halfhLi64ELi2ELi16ELi16ELi2ELi1EEEviiiPKT0_S4_PT_PKfS8_ii
	.globl	_ZN5aiter17wvSplitKQ_hf_sml_I6__halfhLi64ELi2ELi16ELi16ELi2ELi1EEEviiiPKT0_S4_PT_PKfS8_ii
	.p2align	8
	.type	_ZN5aiter17wvSplitKQ_hf_sml_I6__halfhLi64ELi2ELi16ELi16ELi2ELi1EEEviiiPKT0_S4_PT_PKfS8_ii,@function
_ZN5aiter17wvSplitKQ_hf_sml_I6__halfhLi64ELi2ELi16ELi16ELi2ELi1EEEviiiPKT0_S4_PT_PKfS8_ii: ; @_ZN5aiter17wvSplitKQ_hf_sml_I6__halfhLi64ELi2ELi16ELi16ELi2ELi1EEEviiiPKT0_S4_PT_PKfS8_ii
; %bb.0:
	s_add_u32 s8, s0, 64
	s_addc_u32 s9, s1, 0
	s_getpc_b64 s[0:1]
	s_add_u32 s0, s0, __PRETTY_FUNCTION__._ZN5aiter17wvSplitKQ_hf_sml_I6__halfhLi64ELi2ELi16ELi16ELi2ELi1EEEviiiPKT0_S4_PT_PKfS8_ii@rel32@lo+4
	s_addc_u32 s1, s1, __PRETTY_FUNCTION__._ZN5aiter17wvSplitKQ_hf_sml_I6__halfhLi64ELi2ELi16ELi16ELi2ELi1EEEviiiPKT0_S4_PT_PKfS8_ii@rel32@hi+12
	v_dual_mov_b32 v0, 0x7c5 :: v_dual_mov_b32 v1, s0
	v_mov_b32_e32 v2, s1
	s_mov_b32 s32, 0
	s_getpc_b64 s[2:3]
	s_add_u32 s2, s2, __assert_fail@rel32@lo+4
	s_addc_u32 s3, s3, __assert_fail@rel32@hi+12
	s_delay_alu instid0(SALU_CYCLE_1)
	s_swappc_b64 s[30:31], s[2:3]
	.section	.rodata,"a",@progbits
	.p2align	6, 0x0
	.amdhsa_kernel _ZN5aiter17wvSplitKQ_hf_sml_I6__halfhLi64ELi2ELi16ELi16ELi2ELi1EEEviiiPKT0_S4_PT_PKfS8_ii
		.amdhsa_group_segment_fixed_size 0
		.amdhsa_private_segment_fixed_size 64
		.amdhsa_kernarg_size 320
		.amdhsa_user_sgpr_count 15
		.amdhsa_user_sgpr_dispatch_ptr 0
		.amdhsa_user_sgpr_queue_ptr 0
		.amdhsa_user_sgpr_kernarg_segment_ptr 1
		.amdhsa_user_sgpr_dispatch_id 0
		.amdhsa_user_sgpr_private_segment_size 0
		.amdhsa_wavefront_size32 1
		.amdhsa_uses_dynamic_stack 0
		.amdhsa_enable_private_segment 1
		.amdhsa_system_sgpr_workgroup_id_x 1
		.amdhsa_system_sgpr_workgroup_id_y 0
		.amdhsa_system_sgpr_workgroup_id_z 0
		.amdhsa_system_sgpr_workgroup_info 0
		.amdhsa_system_vgpr_workitem_id 0
		.amdhsa_next_free_vgpr 50
		.amdhsa_next_free_sgpr 34
		.amdhsa_reserve_vcc 1
		.amdhsa_float_round_mode_32 0
		.amdhsa_float_round_mode_16_64 0
		.amdhsa_float_denorm_mode_32 3
		.amdhsa_float_denorm_mode_16_64 3
		.amdhsa_dx10_clamp 1
		.amdhsa_ieee_mode 1
		.amdhsa_fp16_overflow 0
		.amdhsa_workgroup_processor_mode 1
		.amdhsa_memory_ordered 1
		.amdhsa_forward_progress 0
		.amdhsa_shared_vgpr_count 0
		.amdhsa_exception_fp_ieee_invalid_op 0
		.amdhsa_exception_fp_denorm_src 0
		.amdhsa_exception_fp_ieee_div_zero 0
		.amdhsa_exception_fp_ieee_overflow 0
		.amdhsa_exception_fp_ieee_underflow 0
		.amdhsa_exception_fp_ieee_inexact 0
		.amdhsa_exception_int_div_zero 0
	.end_amdhsa_kernel
	.section	.text._ZN5aiter17wvSplitKQ_hf_sml_I6__halfhLi64ELi2ELi16ELi16ELi2ELi1EEEviiiPKT0_S4_PT_PKfS8_ii,"axG",@progbits,_ZN5aiter17wvSplitKQ_hf_sml_I6__halfhLi64ELi2ELi16ELi16ELi2ELi1EEEviiiPKT0_S4_PT_PKfS8_ii,comdat
.Lfunc_end68:
	.size	_ZN5aiter17wvSplitKQ_hf_sml_I6__halfhLi64ELi2ELi16ELi16ELi2ELi1EEEviiiPKT0_S4_PT_PKfS8_ii, .Lfunc_end68-_ZN5aiter17wvSplitKQ_hf_sml_I6__halfhLi64ELi2ELi16ELi16ELi2ELi1EEEviiiPKT0_S4_PT_PKfS8_ii
                                        ; -- End function
	.section	.AMDGPU.csdata,"",@progbits
; Kernel info:
; codeLenInByte = 76
; NumSgprs: 36
; NumVgprs: 50
; ScratchSize: 64
; MemoryBound: 0
; FloatMode: 240
; IeeeMode: 1
; LDSByteSize: 0 bytes/workgroup (compile time only)
; SGPRBlocks: 4
; VGPRBlocks: 6
; NumSGPRsForWavesPerEU: 36
; NumVGPRsForWavesPerEU: 50
; Occupancy: 16
; WaveLimiterHint : 1
; COMPUTE_PGM_RSRC2:SCRATCH_EN: 1
; COMPUTE_PGM_RSRC2:USER_SGPR: 15
; COMPUTE_PGM_RSRC2:TRAP_HANDLER: 0
; COMPUTE_PGM_RSRC2:TGID_X_EN: 1
; COMPUTE_PGM_RSRC2:TGID_Y_EN: 0
; COMPUTE_PGM_RSRC2:TGID_Z_EN: 0
; COMPUTE_PGM_RSRC2:TIDIG_COMP_CNT: 0
	.section	.text._ZN5aiter13wvSplitKQ_hf_I6__halfhLi64ELi2ELi16ELi16ELi2ELi1EEEviiiPKT0_S4_PT_PKfS8_ii,"axG",@progbits,_ZN5aiter13wvSplitKQ_hf_I6__halfhLi64ELi2ELi16ELi16ELi2ELi1EEEviiiPKT0_S4_PT_PKfS8_ii,comdat
	.protected	_ZN5aiter13wvSplitKQ_hf_I6__halfhLi64ELi2ELi16ELi16ELi2ELi1EEEviiiPKT0_S4_PT_PKfS8_ii ; -- Begin function _ZN5aiter13wvSplitKQ_hf_I6__halfhLi64ELi2ELi16ELi16ELi2ELi1EEEviiiPKT0_S4_PT_PKfS8_ii
	.globl	_ZN5aiter13wvSplitKQ_hf_I6__halfhLi64ELi2ELi16ELi16ELi2ELi1EEEviiiPKT0_S4_PT_PKfS8_ii
	.p2align	8
	.type	_ZN5aiter13wvSplitKQ_hf_I6__halfhLi64ELi2ELi16ELi16ELi2ELi1EEEviiiPKT0_S4_PT_PKfS8_ii,@function
_ZN5aiter13wvSplitKQ_hf_I6__halfhLi64ELi2ELi16ELi16ELi2ELi1EEEviiiPKT0_S4_PT_PKfS8_ii: ; @_ZN5aiter13wvSplitKQ_hf_I6__halfhLi64ELi2ELi16ELi16ELi2ELi1EEEviiiPKT0_S4_PT_PKfS8_ii
; %bb.0:
	s_add_u32 s8, s0, 64
	s_addc_u32 s9, s1, 0
	s_getpc_b64 s[0:1]
	s_add_u32 s0, s0, __PRETTY_FUNCTION__._ZN5aiter13wvSplitKQ_hf_I6__halfhLi64ELi2ELi16ELi16ELi2ELi1EEEviiiPKT0_S4_PT_PKfS8_ii@rel32@lo+4
	s_addc_u32 s1, s1, __PRETTY_FUNCTION__._ZN5aiter13wvSplitKQ_hf_I6__halfhLi64ELi2ELi16ELi16ELi2ELi1EEEviiiPKT0_S4_PT_PKfS8_ii@rel32@hi+12
	v_dual_mov_b32 v0, 0x89e :: v_dual_mov_b32 v1, s0
	v_mov_b32_e32 v2, s1
	s_mov_b32 s32, 0
	s_getpc_b64 s[2:3]
	s_add_u32 s2, s2, __assert_fail@rel32@lo+4
	s_addc_u32 s3, s3, __assert_fail@rel32@hi+12
	s_delay_alu instid0(SALU_CYCLE_1)
	s_swappc_b64 s[30:31], s[2:3]
	.section	.rodata,"a",@progbits
	.p2align	6, 0x0
	.amdhsa_kernel _ZN5aiter13wvSplitKQ_hf_I6__halfhLi64ELi2ELi16ELi16ELi2ELi1EEEviiiPKT0_S4_PT_PKfS8_ii
		.amdhsa_group_segment_fixed_size 0
		.amdhsa_private_segment_fixed_size 64
		.amdhsa_kernarg_size 320
		.amdhsa_user_sgpr_count 15
		.amdhsa_user_sgpr_dispatch_ptr 0
		.amdhsa_user_sgpr_queue_ptr 0
		.amdhsa_user_sgpr_kernarg_segment_ptr 1
		.amdhsa_user_sgpr_dispatch_id 0
		.amdhsa_user_sgpr_private_segment_size 0
		.amdhsa_wavefront_size32 1
		.amdhsa_uses_dynamic_stack 0
		.amdhsa_enable_private_segment 1
		.amdhsa_system_sgpr_workgroup_id_x 1
		.amdhsa_system_sgpr_workgroup_id_y 0
		.amdhsa_system_sgpr_workgroup_id_z 0
		.amdhsa_system_sgpr_workgroup_info 0
		.amdhsa_system_vgpr_workitem_id 0
		.amdhsa_next_free_vgpr 50
		.amdhsa_next_free_sgpr 34
		.amdhsa_reserve_vcc 1
		.amdhsa_float_round_mode_32 0
		.amdhsa_float_round_mode_16_64 0
		.amdhsa_float_denorm_mode_32 3
		.amdhsa_float_denorm_mode_16_64 3
		.amdhsa_dx10_clamp 1
		.amdhsa_ieee_mode 1
		.amdhsa_fp16_overflow 0
		.amdhsa_workgroup_processor_mode 1
		.amdhsa_memory_ordered 1
		.amdhsa_forward_progress 0
		.amdhsa_shared_vgpr_count 0
		.amdhsa_exception_fp_ieee_invalid_op 0
		.amdhsa_exception_fp_denorm_src 0
		.amdhsa_exception_fp_ieee_div_zero 0
		.amdhsa_exception_fp_ieee_overflow 0
		.amdhsa_exception_fp_ieee_underflow 0
		.amdhsa_exception_fp_ieee_inexact 0
		.amdhsa_exception_int_div_zero 0
	.end_amdhsa_kernel
	.section	.text._ZN5aiter13wvSplitKQ_hf_I6__halfhLi64ELi2ELi16ELi16ELi2ELi1EEEviiiPKT0_S4_PT_PKfS8_ii,"axG",@progbits,_ZN5aiter13wvSplitKQ_hf_I6__halfhLi64ELi2ELi16ELi16ELi2ELi1EEEviiiPKT0_S4_PT_PKfS8_ii,comdat
.Lfunc_end69:
	.size	_ZN5aiter13wvSplitKQ_hf_I6__halfhLi64ELi2ELi16ELi16ELi2ELi1EEEviiiPKT0_S4_PT_PKfS8_ii, .Lfunc_end69-_ZN5aiter13wvSplitKQ_hf_I6__halfhLi64ELi2ELi16ELi16ELi2ELi1EEEviiiPKT0_S4_PT_PKfS8_ii
                                        ; -- End function
	.section	.AMDGPU.csdata,"",@progbits
; Kernel info:
; codeLenInByte = 76
; NumSgprs: 36
; NumVgprs: 50
; ScratchSize: 64
; MemoryBound: 0
; FloatMode: 240
; IeeeMode: 1
; LDSByteSize: 0 bytes/workgroup (compile time only)
; SGPRBlocks: 4
; VGPRBlocks: 6
; NumSGPRsForWavesPerEU: 36
; NumVGPRsForWavesPerEU: 50
; Occupancy: 16
; WaveLimiterHint : 1
; COMPUTE_PGM_RSRC2:SCRATCH_EN: 1
; COMPUTE_PGM_RSRC2:USER_SGPR: 15
; COMPUTE_PGM_RSRC2:TRAP_HANDLER: 0
; COMPUTE_PGM_RSRC2:TGID_X_EN: 1
; COMPUTE_PGM_RSRC2:TGID_Y_EN: 0
; COMPUTE_PGM_RSRC2:TGID_Z_EN: 0
; COMPUTE_PGM_RSRC2:TIDIG_COMP_CNT: 0
	.section	.text._ZN5aiter17wvSplitKQ_hf_sml_I6__halfhLi64ELi2ELi16ELi16ELi2ELi2EEEviiiPKT0_S4_PT_PKfS8_ii,"axG",@progbits,_ZN5aiter17wvSplitKQ_hf_sml_I6__halfhLi64ELi2ELi16ELi16ELi2ELi2EEEviiiPKT0_S4_PT_PKfS8_ii,comdat
	.protected	_ZN5aiter17wvSplitKQ_hf_sml_I6__halfhLi64ELi2ELi16ELi16ELi2ELi2EEEviiiPKT0_S4_PT_PKfS8_ii ; -- Begin function _ZN5aiter17wvSplitKQ_hf_sml_I6__halfhLi64ELi2ELi16ELi16ELi2ELi2EEEviiiPKT0_S4_PT_PKfS8_ii
	.globl	_ZN5aiter17wvSplitKQ_hf_sml_I6__halfhLi64ELi2ELi16ELi16ELi2ELi2EEEviiiPKT0_S4_PT_PKfS8_ii
	.p2align	8
	.type	_ZN5aiter17wvSplitKQ_hf_sml_I6__halfhLi64ELi2ELi16ELi16ELi2ELi2EEEviiiPKT0_S4_PT_PKfS8_ii,@function
_ZN5aiter17wvSplitKQ_hf_sml_I6__halfhLi64ELi2ELi16ELi16ELi2ELi2EEEviiiPKT0_S4_PT_PKfS8_ii: ; @_ZN5aiter17wvSplitKQ_hf_sml_I6__halfhLi64ELi2ELi16ELi16ELi2ELi2EEEviiiPKT0_S4_PT_PKfS8_ii
; %bb.0:
	s_add_u32 s8, s0, 64
	s_addc_u32 s9, s1, 0
	s_getpc_b64 s[0:1]
	s_add_u32 s0, s0, __PRETTY_FUNCTION__._ZN5aiter17wvSplitKQ_hf_sml_I6__halfhLi64ELi2ELi16ELi16ELi2ELi2EEEviiiPKT0_S4_PT_PKfS8_ii@rel32@lo+4
	s_addc_u32 s1, s1, __PRETTY_FUNCTION__._ZN5aiter17wvSplitKQ_hf_sml_I6__halfhLi64ELi2ELi16ELi16ELi2ELi2EEEviiiPKT0_S4_PT_PKfS8_ii@rel32@hi+12
	v_dual_mov_b32 v0, 0x7c5 :: v_dual_mov_b32 v1, s0
	v_mov_b32_e32 v2, s1
	s_mov_b32 s32, 0
	s_getpc_b64 s[2:3]
	s_add_u32 s2, s2, __assert_fail@rel32@lo+4
	s_addc_u32 s3, s3, __assert_fail@rel32@hi+12
	s_delay_alu instid0(SALU_CYCLE_1)
	s_swappc_b64 s[30:31], s[2:3]
	.section	.rodata,"a",@progbits
	.p2align	6, 0x0
	.amdhsa_kernel _ZN5aiter17wvSplitKQ_hf_sml_I6__halfhLi64ELi2ELi16ELi16ELi2ELi2EEEviiiPKT0_S4_PT_PKfS8_ii
		.amdhsa_group_segment_fixed_size 0
		.amdhsa_private_segment_fixed_size 64
		.amdhsa_kernarg_size 320
		.amdhsa_user_sgpr_count 15
		.amdhsa_user_sgpr_dispatch_ptr 0
		.amdhsa_user_sgpr_queue_ptr 0
		.amdhsa_user_sgpr_kernarg_segment_ptr 1
		.amdhsa_user_sgpr_dispatch_id 0
		.amdhsa_user_sgpr_private_segment_size 0
		.amdhsa_wavefront_size32 1
		.amdhsa_uses_dynamic_stack 0
		.amdhsa_enable_private_segment 1
		.amdhsa_system_sgpr_workgroup_id_x 1
		.amdhsa_system_sgpr_workgroup_id_y 0
		.amdhsa_system_sgpr_workgroup_id_z 0
		.amdhsa_system_sgpr_workgroup_info 0
		.amdhsa_system_vgpr_workitem_id 0
		.amdhsa_next_free_vgpr 50
		.amdhsa_next_free_sgpr 34
		.amdhsa_reserve_vcc 1
		.amdhsa_float_round_mode_32 0
		.amdhsa_float_round_mode_16_64 0
		.amdhsa_float_denorm_mode_32 3
		.amdhsa_float_denorm_mode_16_64 3
		.amdhsa_dx10_clamp 1
		.amdhsa_ieee_mode 1
		.amdhsa_fp16_overflow 0
		.amdhsa_workgroup_processor_mode 1
		.amdhsa_memory_ordered 1
		.amdhsa_forward_progress 0
		.amdhsa_shared_vgpr_count 0
		.amdhsa_exception_fp_ieee_invalid_op 0
		.amdhsa_exception_fp_denorm_src 0
		.amdhsa_exception_fp_ieee_div_zero 0
		.amdhsa_exception_fp_ieee_overflow 0
		.amdhsa_exception_fp_ieee_underflow 0
		.amdhsa_exception_fp_ieee_inexact 0
		.amdhsa_exception_int_div_zero 0
	.end_amdhsa_kernel
	.section	.text._ZN5aiter17wvSplitKQ_hf_sml_I6__halfhLi64ELi2ELi16ELi16ELi2ELi2EEEviiiPKT0_S4_PT_PKfS8_ii,"axG",@progbits,_ZN5aiter17wvSplitKQ_hf_sml_I6__halfhLi64ELi2ELi16ELi16ELi2ELi2EEEviiiPKT0_S4_PT_PKfS8_ii,comdat
.Lfunc_end70:
	.size	_ZN5aiter17wvSplitKQ_hf_sml_I6__halfhLi64ELi2ELi16ELi16ELi2ELi2EEEviiiPKT0_S4_PT_PKfS8_ii, .Lfunc_end70-_ZN5aiter17wvSplitKQ_hf_sml_I6__halfhLi64ELi2ELi16ELi16ELi2ELi2EEEviiiPKT0_S4_PT_PKfS8_ii
                                        ; -- End function
	.section	.AMDGPU.csdata,"",@progbits
; Kernel info:
; codeLenInByte = 76
; NumSgprs: 36
; NumVgprs: 50
; ScratchSize: 64
; MemoryBound: 0
; FloatMode: 240
; IeeeMode: 1
; LDSByteSize: 0 bytes/workgroup (compile time only)
; SGPRBlocks: 4
; VGPRBlocks: 6
; NumSGPRsForWavesPerEU: 36
; NumVGPRsForWavesPerEU: 50
; Occupancy: 16
; WaveLimiterHint : 1
; COMPUTE_PGM_RSRC2:SCRATCH_EN: 1
; COMPUTE_PGM_RSRC2:USER_SGPR: 15
; COMPUTE_PGM_RSRC2:TRAP_HANDLER: 0
; COMPUTE_PGM_RSRC2:TGID_X_EN: 1
; COMPUTE_PGM_RSRC2:TGID_Y_EN: 0
; COMPUTE_PGM_RSRC2:TGID_Z_EN: 0
; COMPUTE_PGM_RSRC2:TIDIG_COMP_CNT: 0
	.section	.text._ZN5aiter13wvSplitKQ_hf_I6__halfhLi64ELi2ELi16ELi16ELi2ELi2EEEviiiPKT0_S4_PT_PKfS8_ii,"axG",@progbits,_ZN5aiter13wvSplitKQ_hf_I6__halfhLi64ELi2ELi16ELi16ELi2ELi2EEEviiiPKT0_S4_PT_PKfS8_ii,comdat
	.protected	_ZN5aiter13wvSplitKQ_hf_I6__halfhLi64ELi2ELi16ELi16ELi2ELi2EEEviiiPKT0_S4_PT_PKfS8_ii ; -- Begin function _ZN5aiter13wvSplitKQ_hf_I6__halfhLi64ELi2ELi16ELi16ELi2ELi2EEEviiiPKT0_S4_PT_PKfS8_ii
	.globl	_ZN5aiter13wvSplitKQ_hf_I6__halfhLi64ELi2ELi16ELi16ELi2ELi2EEEviiiPKT0_S4_PT_PKfS8_ii
	.p2align	8
	.type	_ZN5aiter13wvSplitKQ_hf_I6__halfhLi64ELi2ELi16ELi16ELi2ELi2EEEviiiPKT0_S4_PT_PKfS8_ii,@function
_ZN5aiter13wvSplitKQ_hf_I6__halfhLi64ELi2ELi16ELi16ELi2ELi2EEEviiiPKT0_S4_PT_PKfS8_ii: ; @_ZN5aiter13wvSplitKQ_hf_I6__halfhLi64ELi2ELi16ELi16ELi2ELi2EEEviiiPKT0_S4_PT_PKfS8_ii
; %bb.0:
	s_add_u32 s8, s0, 64
	s_addc_u32 s9, s1, 0
	s_getpc_b64 s[0:1]
	s_add_u32 s0, s0, __PRETTY_FUNCTION__._ZN5aiter13wvSplitKQ_hf_I6__halfhLi64ELi2ELi16ELi16ELi2ELi2EEEviiiPKT0_S4_PT_PKfS8_ii@rel32@lo+4
	s_addc_u32 s1, s1, __PRETTY_FUNCTION__._ZN5aiter13wvSplitKQ_hf_I6__halfhLi64ELi2ELi16ELi16ELi2ELi2EEEviiiPKT0_S4_PT_PKfS8_ii@rel32@hi+12
	v_dual_mov_b32 v0, 0x89e :: v_dual_mov_b32 v1, s0
	v_mov_b32_e32 v2, s1
	s_mov_b32 s32, 0
	s_getpc_b64 s[2:3]
	s_add_u32 s2, s2, __assert_fail@rel32@lo+4
	s_addc_u32 s3, s3, __assert_fail@rel32@hi+12
	s_delay_alu instid0(SALU_CYCLE_1)
	s_swappc_b64 s[30:31], s[2:3]
	.section	.rodata,"a",@progbits
	.p2align	6, 0x0
	.amdhsa_kernel _ZN5aiter13wvSplitKQ_hf_I6__halfhLi64ELi2ELi16ELi16ELi2ELi2EEEviiiPKT0_S4_PT_PKfS8_ii
		.amdhsa_group_segment_fixed_size 0
		.amdhsa_private_segment_fixed_size 64
		.amdhsa_kernarg_size 320
		.amdhsa_user_sgpr_count 15
		.amdhsa_user_sgpr_dispatch_ptr 0
		.amdhsa_user_sgpr_queue_ptr 0
		.amdhsa_user_sgpr_kernarg_segment_ptr 1
		.amdhsa_user_sgpr_dispatch_id 0
		.amdhsa_user_sgpr_private_segment_size 0
		.amdhsa_wavefront_size32 1
		.amdhsa_uses_dynamic_stack 0
		.amdhsa_enable_private_segment 1
		.amdhsa_system_sgpr_workgroup_id_x 1
		.amdhsa_system_sgpr_workgroup_id_y 0
		.amdhsa_system_sgpr_workgroup_id_z 0
		.amdhsa_system_sgpr_workgroup_info 0
		.amdhsa_system_vgpr_workitem_id 0
		.amdhsa_next_free_vgpr 50
		.amdhsa_next_free_sgpr 34
		.amdhsa_reserve_vcc 1
		.amdhsa_float_round_mode_32 0
		.amdhsa_float_round_mode_16_64 0
		.amdhsa_float_denorm_mode_32 3
		.amdhsa_float_denorm_mode_16_64 3
		.amdhsa_dx10_clamp 1
		.amdhsa_ieee_mode 1
		.amdhsa_fp16_overflow 0
		.amdhsa_workgroup_processor_mode 1
		.amdhsa_memory_ordered 1
		.amdhsa_forward_progress 0
		.amdhsa_shared_vgpr_count 0
		.amdhsa_exception_fp_ieee_invalid_op 0
		.amdhsa_exception_fp_denorm_src 0
		.amdhsa_exception_fp_ieee_div_zero 0
		.amdhsa_exception_fp_ieee_overflow 0
		.amdhsa_exception_fp_ieee_underflow 0
		.amdhsa_exception_fp_ieee_inexact 0
		.amdhsa_exception_int_div_zero 0
	.end_amdhsa_kernel
	.section	.text._ZN5aiter13wvSplitKQ_hf_I6__halfhLi64ELi2ELi16ELi16ELi2ELi2EEEviiiPKT0_S4_PT_PKfS8_ii,"axG",@progbits,_ZN5aiter13wvSplitKQ_hf_I6__halfhLi64ELi2ELi16ELi16ELi2ELi2EEEviiiPKT0_S4_PT_PKfS8_ii,comdat
.Lfunc_end71:
	.size	_ZN5aiter13wvSplitKQ_hf_I6__halfhLi64ELi2ELi16ELi16ELi2ELi2EEEviiiPKT0_S4_PT_PKfS8_ii, .Lfunc_end71-_ZN5aiter13wvSplitKQ_hf_I6__halfhLi64ELi2ELi16ELi16ELi2ELi2EEEviiiPKT0_S4_PT_PKfS8_ii
                                        ; -- End function
	.section	.AMDGPU.csdata,"",@progbits
; Kernel info:
; codeLenInByte = 76
; NumSgprs: 36
; NumVgprs: 50
; ScratchSize: 64
; MemoryBound: 0
; FloatMode: 240
; IeeeMode: 1
; LDSByteSize: 0 bytes/workgroup (compile time only)
; SGPRBlocks: 4
; VGPRBlocks: 6
; NumSGPRsForWavesPerEU: 36
; NumVGPRsForWavesPerEU: 50
; Occupancy: 16
; WaveLimiterHint : 1
; COMPUTE_PGM_RSRC2:SCRATCH_EN: 1
; COMPUTE_PGM_RSRC2:USER_SGPR: 15
; COMPUTE_PGM_RSRC2:TRAP_HANDLER: 0
; COMPUTE_PGM_RSRC2:TGID_X_EN: 1
; COMPUTE_PGM_RSRC2:TGID_Y_EN: 0
; COMPUTE_PGM_RSRC2:TGID_Z_EN: 0
; COMPUTE_PGM_RSRC2:TIDIG_COMP_CNT: 0
	.section	.text._ZN5aiter17wvSplitKQ_hf_sml_I6__halfhLi64ELi4ELi16ELi16ELi1ELi3EEEviiiPKT0_S4_PT_PKfS8_ii,"axG",@progbits,_ZN5aiter17wvSplitKQ_hf_sml_I6__halfhLi64ELi4ELi16ELi16ELi1ELi3EEEviiiPKT0_S4_PT_PKfS8_ii,comdat
	.protected	_ZN5aiter17wvSplitKQ_hf_sml_I6__halfhLi64ELi4ELi16ELi16ELi1ELi3EEEviiiPKT0_S4_PT_PKfS8_ii ; -- Begin function _ZN5aiter17wvSplitKQ_hf_sml_I6__halfhLi64ELi4ELi16ELi16ELi1ELi3EEEviiiPKT0_S4_PT_PKfS8_ii
	.globl	_ZN5aiter17wvSplitKQ_hf_sml_I6__halfhLi64ELi4ELi16ELi16ELi1ELi3EEEviiiPKT0_S4_PT_PKfS8_ii
	.p2align	8
	.type	_ZN5aiter17wvSplitKQ_hf_sml_I6__halfhLi64ELi4ELi16ELi16ELi1ELi3EEEviiiPKT0_S4_PT_PKfS8_ii,@function
_ZN5aiter17wvSplitKQ_hf_sml_I6__halfhLi64ELi4ELi16ELi16ELi1ELi3EEEviiiPKT0_S4_PT_PKfS8_ii: ; @_ZN5aiter17wvSplitKQ_hf_sml_I6__halfhLi64ELi4ELi16ELi16ELi1ELi3EEEviiiPKT0_S4_PT_PKfS8_ii
; %bb.0:
	s_add_u32 s8, s0, 64
	s_addc_u32 s9, s1, 0
	s_getpc_b64 s[0:1]
	s_add_u32 s0, s0, __PRETTY_FUNCTION__._ZN5aiter17wvSplitKQ_hf_sml_I6__halfhLi64ELi4ELi16ELi16ELi1ELi3EEEviiiPKT0_S4_PT_PKfS8_ii@rel32@lo+4
	s_addc_u32 s1, s1, __PRETTY_FUNCTION__._ZN5aiter17wvSplitKQ_hf_sml_I6__halfhLi64ELi4ELi16ELi16ELi1ELi3EEEviiiPKT0_S4_PT_PKfS8_ii@rel32@hi+12
	v_dual_mov_b32 v0, 0x7c5 :: v_dual_mov_b32 v1, s0
	v_mov_b32_e32 v2, s1
	s_mov_b32 s32, 0
	s_getpc_b64 s[2:3]
	s_add_u32 s2, s2, __assert_fail@rel32@lo+4
	s_addc_u32 s3, s3, __assert_fail@rel32@hi+12
	s_delay_alu instid0(SALU_CYCLE_1)
	s_swappc_b64 s[30:31], s[2:3]
	.section	.rodata,"a",@progbits
	.p2align	6, 0x0
	.amdhsa_kernel _ZN5aiter17wvSplitKQ_hf_sml_I6__halfhLi64ELi4ELi16ELi16ELi1ELi3EEEviiiPKT0_S4_PT_PKfS8_ii
		.amdhsa_group_segment_fixed_size 0
		.amdhsa_private_segment_fixed_size 64
		.amdhsa_kernarg_size 320
		.amdhsa_user_sgpr_count 15
		.amdhsa_user_sgpr_dispatch_ptr 0
		.amdhsa_user_sgpr_queue_ptr 0
		.amdhsa_user_sgpr_kernarg_segment_ptr 1
		.amdhsa_user_sgpr_dispatch_id 0
		.amdhsa_user_sgpr_private_segment_size 0
		.amdhsa_wavefront_size32 1
		.amdhsa_uses_dynamic_stack 0
		.amdhsa_enable_private_segment 1
		.amdhsa_system_sgpr_workgroup_id_x 1
		.amdhsa_system_sgpr_workgroup_id_y 0
		.amdhsa_system_sgpr_workgroup_id_z 0
		.amdhsa_system_sgpr_workgroup_info 0
		.amdhsa_system_vgpr_workitem_id 0
		.amdhsa_next_free_vgpr 50
		.amdhsa_next_free_sgpr 34
		.amdhsa_reserve_vcc 1
		.amdhsa_float_round_mode_32 0
		.amdhsa_float_round_mode_16_64 0
		.amdhsa_float_denorm_mode_32 3
		.amdhsa_float_denorm_mode_16_64 3
		.amdhsa_dx10_clamp 1
		.amdhsa_ieee_mode 1
		.amdhsa_fp16_overflow 0
		.amdhsa_workgroup_processor_mode 1
		.amdhsa_memory_ordered 1
		.amdhsa_forward_progress 0
		.amdhsa_shared_vgpr_count 0
		.amdhsa_exception_fp_ieee_invalid_op 0
		.amdhsa_exception_fp_denorm_src 0
		.amdhsa_exception_fp_ieee_div_zero 0
		.amdhsa_exception_fp_ieee_overflow 0
		.amdhsa_exception_fp_ieee_underflow 0
		.amdhsa_exception_fp_ieee_inexact 0
		.amdhsa_exception_int_div_zero 0
	.end_amdhsa_kernel
	.section	.text._ZN5aiter17wvSplitKQ_hf_sml_I6__halfhLi64ELi4ELi16ELi16ELi1ELi3EEEviiiPKT0_S4_PT_PKfS8_ii,"axG",@progbits,_ZN5aiter17wvSplitKQ_hf_sml_I6__halfhLi64ELi4ELi16ELi16ELi1ELi3EEEviiiPKT0_S4_PT_PKfS8_ii,comdat
.Lfunc_end72:
	.size	_ZN5aiter17wvSplitKQ_hf_sml_I6__halfhLi64ELi4ELi16ELi16ELi1ELi3EEEviiiPKT0_S4_PT_PKfS8_ii, .Lfunc_end72-_ZN5aiter17wvSplitKQ_hf_sml_I6__halfhLi64ELi4ELi16ELi16ELi1ELi3EEEviiiPKT0_S4_PT_PKfS8_ii
                                        ; -- End function
	.section	.AMDGPU.csdata,"",@progbits
; Kernel info:
; codeLenInByte = 76
; NumSgprs: 36
; NumVgprs: 50
; ScratchSize: 64
; MemoryBound: 0
; FloatMode: 240
; IeeeMode: 1
; LDSByteSize: 0 bytes/workgroup (compile time only)
; SGPRBlocks: 4
; VGPRBlocks: 6
; NumSGPRsForWavesPerEU: 36
; NumVGPRsForWavesPerEU: 50
; Occupancy: 16
; WaveLimiterHint : 1
; COMPUTE_PGM_RSRC2:SCRATCH_EN: 1
; COMPUTE_PGM_RSRC2:USER_SGPR: 15
; COMPUTE_PGM_RSRC2:TRAP_HANDLER: 0
; COMPUTE_PGM_RSRC2:TGID_X_EN: 1
; COMPUTE_PGM_RSRC2:TGID_Y_EN: 0
; COMPUTE_PGM_RSRC2:TGID_Z_EN: 0
; COMPUTE_PGM_RSRC2:TIDIG_COMP_CNT: 0
	.section	.text._ZN5aiter13wvSplitKQ_hf_I6__halfhLi64ELi7ELi16ELi16ELi1ELi3EEEviiiPKT0_S4_PT_PKfS8_ii,"axG",@progbits,_ZN5aiter13wvSplitKQ_hf_I6__halfhLi64ELi7ELi16ELi16ELi1ELi3EEEviiiPKT0_S4_PT_PKfS8_ii,comdat
	.protected	_ZN5aiter13wvSplitKQ_hf_I6__halfhLi64ELi7ELi16ELi16ELi1ELi3EEEviiiPKT0_S4_PT_PKfS8_ii ; -- Begin function _ZN5aiter13wvSplitKQ_hf_I6__halfhLi64ELi7ELi16ELi16ELi1ELi3EEEviiiPKT0_S4_PT_PKfS8_ii
	.globl	_ZN5aiter13wvSplitKQ_hf_I6__halfhLi64ELi7ELi16ELi16ELi1ELi3EEEviiiPKT0_S4_PT_PKfS8_ii
	.p2align	8
	.type	_ZN5aiter13wvSplitKQ_hf_I6__halfhLi64ELi7ELi16ELi16ELi1ELi3EEEviiiPKT0_S4_PT_PKfS8_ii,@function
_ZN5aiter13wvSplitKQ_hf_I6__halfhLi64ELi7ELi16ELi16ELi1ELi3EEEviiiPKT0_S4_PT_PKfS8_ii: ; @_ZN5aiter13wvSplitKQ_hf_I6__halfhLi64ELi7ELi16ELi16ELi1ELi3EEEviiiPKT0_S4_PT_PKfS8_ii
; %bb.0:
	s_add_u32 s8, s0, 64
	s_addc_u32 s9, s1, 0
	s_getpc_b64 s[0:1]
	s_add_u32 s0, s0, __PRETTY_FUNCTION__._ZN5aiter13wvSplitKQ_hf_I6__halfhLi64ELi7ELi16ELi16ELi1ELi3EEEviiiPKT0_S4_PT_PKfS8_ii@rel32@lo+4
	s_addc_u32 s1, s1, __PRETTY_FUNCTION__._ZN5aiter13wvSplitKQ_hf_I6__halfhLi64ELi7ELi16ELi16ELi1ELi3EEEviiiPKT0_S4_PT_PKfS8_ii@rel32@hi+12
	v_dual_mov_b32 v0, 0x89e :: v_dual_mov_b32 v1, s0
	v_mov_b32_e32 v2, s1
	s_mov_b32 s32, 0
	s_getpc_b64 s[2:3]
	s_add_u32 s2, s2, __assert_fail@rel32@lo+4
	s_addc_u32 s3, s3, __assert_fail@rel32@hi+12
	s_delay_alu instid0(SALU_CYCLE_1)
	s_swappc_b64 s[30:31], s[2:3]
	.section	.rodata,"a",@progbits
	.p2align	6, 0x0
	.amdhsa_kernel _ZN5aiter13wvSplitKQ_hf_I6__halfhLi64ELi7ELi16ELi16ELi1ELi3EEEviiiPKT0_S4_PT_PKfS8_ii
		.amdhsa_group_segment_fixed_size 0
		.amdhsa_private_segment_fixed_size 64
		.amdhsa_kernarg_size 320
		.amdhsa_user_sgpr_count 15
		.amdhsa_user_sgpr_dispatch_ptr 0
		.amdhsa_user_sgpr_queue_ptr 0
		.amdhsa_user_sgpr_kernarg_segment_ptr 1
		.amdhsa_user_sgpr_dispatch_id 0
		.amdhsa_user_sgpr_private_segment_size 0
		.amdhsa_wavefront_size32 1
		.amdhsa_uses_dynamic_stack 0
		.amdhsa_enable_private_segment 1
		.amdhsa_system_sgpr_workgroup_id_x 1
		.amdhsa_system_sgpr_workgroup_id_y 0
		.amdhsa_system_sgpr_workgroup_id_z 0
		.amdhsa_system_sgpr_workgroup_info 0
		.amdhsa_system_vgpr_workitem_id 0
		.amdhsa_next_free_vgpr 50
		.amdhsa_next_free_sgpr 34
		.amdhsa_reserve_vcc 1
		.amdhsa_float_round_mode_32 0
		.amdhsa_float_round_mode_16_64 0
		.amdhsa_float_denorm_mode_32 3
		.amdhsa_float_denorm_mode_16_64 3
		.amdhsa_dx10_clamp 1
		.amdhsa_ieee_mode 1
		.amdhsa_fp16_overflow 0
		.amdhsa_workgroup_processor_mode 1
		.amdhsa_memory_ordered 1
		.amdhsa_forward_progress 0
		.amdhsa_shared_vgpr_count 0
		.amdhsa_exception_fp_ieee_invalid_op 0
		.amdhsa_exception_fp_denorm_src 0
		.amdhsa_exception_fp_ieee_div_zero 0
		.amdhsa_exception_fp_ieee_overflow 0
		.amdhsa_exception_fp_ieee_underflow 0
		.amdhsa_exception_fp_ieee_inexact 0
		.amdhsa_exception_int_div_zero 0
	.end_amdhsa_kernel
	.section	.text._ZN5aiter13wvSplitKQ_hf_I6__halfhLi64ELi7ELi16ELi16ELi1ELi3EEEviiiPKT0_S4_PT_PKfS8_ii,"axG",@progbits,_ZN5aiter13wvSplitKQ_hf_I6__halfhLi64ELi7ELi16ELi16ELi1ELi3EEEviiiPKT0_S4_PT_PKfS8_ii,comdat
.Lfunc_end73:
	.size	_ZN5aiter13wvSplitKQ_hf_I6__halfhLi64ELi7ELi16ELi16ELi1ELi3EEEviiiPKT0_S4_PT_PKfS8_ii, .Lfunc_end73-_ZN5aiter13wvSplitKQ_hf_I6__halfhLi64ELi7ELi16ELi16ELi1ELi3EEEviiiPKT0_S4_PT_PKfS8_ii
                                        ; -- End function
	.section	.AMDGPU.csdata,"",@progbits
; Kernel info:
; codeLenInByte = 76
; NumSgprs: 36
; NumVgprs: 50
; ScratchSize: 64
; MemoryBound: 0
; FloatMode: 240
; IeeeMode: 1
; LDSByteSize: 0 bytes/workgroup (compile time only)
; SGPRBlocks: 4
; VGPRBlocks: 6
; NumSGPRsForWavesPerEU: 36
; NumVGPRsForWavesPerEU: 50
; Occupancy: 16
; WaveLimiterHint : 1
; COMPUTE_PGM_RSRC2:SCRATCH_EN: 1
; COMPUTE_PGM_RSRC2:USER_SGPR: 15
; COMPUTE_PGM_RSRC2:TRAP_HANDLER: 0
; COMPUTE_PGM_RSRC2:TGID_X_EN: 1
; COMPUTE_PGM_RSRC2:TGID_Y_EN: 0
; COMPUTE_PGM_RSRC2:TGID_Z_EN: 0
; COMPUTE_PGM_RSRC2:TIDIG_COMP_CNT: 0
	.section	.text._ZN5aiter17wvSplitKQ_hf_sml_I6__halfhLi64ELi4ELi16ELi16ELi1ELi4EEEviiiPKT0_S4_PT_PKfS8_ii,"axG",@progbits,_ZN5aiter17wvSplitKQ_hf_sml_I6__halfhLi64ELi4ELi16ELi16ELi1ELi4EEEviiiPKT0_S4_PT_PKfS8_ii,comdat
	.protected	_ZN5aiter17wvSplitKQ_hf_sml_I6__halfhLi64ELi4ELi16ELi16ELi1ELi4EEEviiiPKT0_S4_PT_PKfS8_ii ; -- Begin function _ZN5aiter17wvSplitKQ_hf_sml_I6__halfhLi64ELi4ELi16ELi16ELi1ELi4EEEviiiPKT0_S4_PT_PKfS8_ii
	.globl	_ZN5aiter17wvSplitKQ_hf_sml_I6__halfhLi64ELi4ELi16ELi16ELi1ELi4EEEviiiPKT0_S4_PT_PKfS8_ii
	.p2align	8
	.type	_ZN5aiter17wvSplitKQ_hf_sml_I6__halfhLi64ELi4ELi16ELi16ELi1ELi4EEEviiiPKT0_S4_PT_PKfS8_ii,@function
_ZN5aiter17wvSplitKQ_hf_sml_I6__halfhLi64ELi4ELi16ELi16ELi1ELi4EEEviiiPKT0_S4_PT_PKfS8_ii: ; @_ZN5aiter17wvSplitKQ_hf_sml_I6__halfhLi64ELi4ELi16ELi16ELi1ELi4EEEviiiPKT0_S4_PT_PKfS8_ii
; %bb.0:
	s_add_u32 s8, s0, 64
	s_addc_u32 s9, s1, 0
	s_getpc_b64 s[0:1]
	s_add_u32 s0, s0, __PRETTY_FUNCTION__._ZN5aiter17wvSplitKQ_hf_sml_I6__halfhLi64ELi4ELi16ELi16ELi1ELi4EEEviiiPKT0_S4_PT_PKfS8_ii@rel32@lo+4
	s_addc_u32 s1, s1, __PRETTY_FUNCTION__._ZN5aiter17wvSplitKQ_hf_sml_I6__halfhLi64ELi4ELi16ELi16ELi1ELi4EEEviiiPKT0_S4_PT_PKfS8_ii@rel32@hi+12
	v_dual_mov_b32 v0, 0x7c5 :: v_dual_mov_b32 v1, s0
	v_mov_b32_e32 v2, s1
	s_mov_b32 s32, 0
	s_getpc_b64 s[2:3]
	s_add_u32 s2, s2, __assert_fail@rel32@lo+4
	s_addc_u32 s3, s3, __assert_fail@rel32@hi+12
	s_delay_alu instid0(SALU_CYCLE_1)
	s_swappc_b64 s[30:31], s[2:3]
	.section	.rodata,"a",@progbits
	.p2align	6, 0x0
	.amdhsa_kernel _ZN5aiter17wvSplitKQ_hf_sml_I6__halfhLi64ELi4ELi16ELi16ELi1ELi4EEEviiiPKT0_S4_PT_PKfS8_ii
		.amdhsa_group_segment_fixed_size 0
		.amdhsa_private_segment_fixed_size 64
		.amdhsa_kernarg_size 320
		.amdhsa_user_sgpr_count 15
		.amdhsa_user_sgpr_dispatch_ptr 0
		.amdhsa_user_sgpr_queue_ptr 0
		.amdhsa_user_sgpr_kernarg_segment_ptr 1
		.amdhsa_user_sgpr_dispatch_id 0
		.amdhsa_user_sgpr_private_segment_size 0
		.amdhsa_wavefront_size32 1
		.amdhsa_uses_dynamic_stack 0
		.amdhsa_enable_private_segment 1
		.amdhsa_system_sgpr_workgroup_id_x 1
		.amdhsa_system_sgpr_workgroup_id_y 0
		.amdhsa_system_sgpr_workgroup_id_z 0
		.amdhsa_system_sgpr_workgroup_info 0
		.amdhsa_system_vgpr_workitem_id 0
		.amdhsa_next_free_vgpr 50
		.amdhsa_next_free_sgpr 34
		.amdhsa_reserve_vcc 1
		.amdhsa_float_round_mode_32 0
		.amdhsa_float_round_mode_16_64 0
		.amdhsa_float_denorm_mode_32 3
		.amdhsa_float_denorm_mode_16_64 3
		.amdhsa_dx10_clamp 1
		.amdhsa_ieee_mode 1
		.amdhsa_fp16_overflow 0
		.amdhsa_workgroup_processor_mode 1
		.amdhsa_memory_ordered 1
		.amdhsa_forward_progress 0
		.amdhsa_shared_vgpr_count 0
		.amdhsa_exception_fp_ieee_invalid_op 0
		.amdhsa_exception_fp_denorm_src 0
		.amdhsa_exception_fp_ieee_div_zero 0
		.amdhsa_exception_fp_ieee_overflow 0
		.amdhsa_exception_fp_ieee_underflow 0
		.amdhsa_exception_fp_ieee_inexact 0
		.amdhsa_exception_int_div_zero 0
	.end_amdhsa_kernel
	.section	.text._ZN5aiter17wvSplitKQ_hf_sml_I6__halfhLi64ELi4ELi16ELi16ELi1ELi4EEEviiiPKT0_S4_PT_PKfS8_ii,"axG",@progbits,_ZN5aiter17wvSplitKQ_hf_sml_I6__halfhLi64ELi4ELi16ELi16ELi1ELi4EEEviiiPKT0_S4_PT_PKfS8_ii,comdat
.Lfunc_end74:
	.size	_ZN5aiter17wvSplitKQ_hf_sml_I6__halfhLi64ELi4ELi16ELi16ELi1ELi4EEEviiiPKT0_S4_PT_PKfS8_ii, .Lfunc_end74-_ZN5aiter17wvSplitKQ_hf_sml_I6__halfhLi64ELi4ELi16ELi16ELi1ELi4EEEviiiPKT0_S4_PT_PKfS8_ii
                                        ; -- End function
	.section	.AMDGPU.csdata,"",@progbits
; Kernel info:
; codeLenInByte = 76
; NumSgprs: 36
; NumVgprs: 50
; ScratchSize: 64
; MemoryBound: 0
; FloatMode: 240
; IeeeMode: 1
; LDSByteSize: 0 bytes/workgroup (compile time only)
; SGPRBlocks: 4
; VGPRBlocks: 6
; NumSGPRsForWavesPerEU: 36
; NumVGPRsForWavesPerEU: 50
; Occupancy: 16
; WaveLimiterHint : 1
; COMPUTE_PGM_RSRC2:SCRATCH_EN: 1
; COMPUTE_PGM_RSRC2:USER_SGPR: 15
; COMPUTE_PGM_RSRC2:TRAP_HANDLER: 0
; COMPUTE_PGM_RSRC2:TGID_X_EN: 1
; COMPUTE_PGM_RSRC2:TGID_Y_EN: 0
; COMPUTE_PGM_RSRC2:TGID_Z_EN: 0
; COMPUTE_PGM_RSRC2:TIDIG_COMP_CNT: 0
	.section	.text._ZN5aiter13wvSplitKQ_hf_I6__halfhLi64ELi7ELi16ELi16ELi1ELi4EEEviiiPKT0_S4_PT_PKfS8_ii,"axG",@progbits,_ZN5aiter13wvSplitKQ_hf_I6__halfhLi64ELi7ELi16ELi16ELi1ELi4EEEviiiPKT0_S4_PT_PKfS8_ii,comdat
	.protected	_ZN5aiter13wvSplitKQ_hf_I6__halfhLi64ELi7ELi16ELi16ELi1ELi4EEEviiiPKT0_S4_PT_PKfS8_ii ; -- Begin function _ZN5aiter13wvSplitKQ_hf_I6__halfhLi64ELi7ELi16ELi16ELi1ELi4EEEviiiPKT0_S4_PT_PKfS8_ii
	.globl	_ZN5aiter13wvSplitKQ_hf_I6__halfhLi64ELi7ELi16ELi16ELi1ELi4EEEviiiPKT0_S4_PT_PKfS8_ii
	.p2align	8
	.type	_ZN5aiter13wvSplitKQ_hf_I6__halfhLi64ELi7ELi16ELi16ELi1ELi4EEEviiiPKT0_S4_PT_PKfS8_ii,@function
_ZN5aiter13wvSplitKQ_hf_I6__halfhLi64ELi7ELi16ELi16ELi1ELi4EEEviiiPKT0_S4_PT_PKfS8_ii: ; @_ZN5aiter13wvSplitKQ_hf_I6__halfhLi64ELi7ELi16ELi16ELi1ELi4EEEviiiPKT0_S4_PT_PKfS8_ii
; %bb.0:
	s_add_u32 s8, s0, 64
	s_addc_u32 s9, s1, 0
	s_getpc_b64 s[0:1]
	s_add_u32 s0, s0, __PRETTY_FUNCTION__._ZN5aiter13wvSplitKQ_hf_I6__halfhLi64ELi7ELi16ELi16ELi1ELi4EEEviiiPKT0_S4_PT_PKfS8_ii@rel32@lo+4
	s_addc_u32 s1, s1, __PRETTY_FUNCTION__._ZN5aiter13wvSplitKQ_hf_I6__halfhLi64ELi7ELi16ELi16ELi1ELi4EEEviiiPKT0_S4_PT_PKfS8_ii@rel32@hi+12
	v_dual_mov_b32 v0, 0x89e :: v_dual_mov_b32 v1, s0
	v_mov_b32_e32 v2, s1
	s_mov_b32 s32, 0
	s_getpc_b64 s[2:3]
	s_add_u32 s2, s2, __assert_fail@rel32@lo+4
	s_addc_u32 s3, s3, __assert_fail@rel32@hi+12
	s_delay_alu instid0(SALU_CYCLE_1)
	s_swappc_b64 s[30:31], s[2:3]
	.section	.rodata,"a",@progbits
	.p2align	6, 0x0
	.amdhsa_kernel _ZN5aiter13wvSplitKQ_hf_I6__halfhLi64ELi7ELi16ELi16ELi1ELi4EEEviiiPKT0_S4_PT_PKfS8_ii
		.amdhsa_group_segment_fixed_size 0
		.amdhsa_private_segment_fixed_size 64
		.amdhsa_kernarg_size 320
		.amdhsa_user_sgpr_count 15
		.amdhsa_user_sgpr_dispatch_ptr 0
		.amdhsa_user_sgpr_queue_ptr 0
		.amdhsa_user_sgpr_kernarg_segment_ptr 1
		.amdhsa_user_sgpr_dispatch_id 0
		.amdhsa_user_sgpr_private_segment_size 0
		.amdhsa_wavefront_size32 1
		.amdhsa_uses_dynamic_stack 0
		.amdhsa_enable_private_segment 1
		.amdhsa_system_sgpr_workgroup_id_x 1
		.amdhsa_system_sgpr_workgroup_id_y 0
		.amdhsa_system_sgpr_workgroup_id_z 0
		.amdhsa_system_sgpr_workgroup_info 0
		.amdhsa_system_vgpr_workitem_id 0
		.amdhsa_next_free_vgpr 50
		.amdhsa_next_free_sgpr 34
		.amdhsa_reserve_vcc 1
		.amdhsa_float_round_mode_32 0
		.amdhsa_float_round_mode_16_64 0
		.amdhsa_float_denorm_mode_32 3
		.amdhsa_float_denorm_mode_16_64 3
		.amdhsa_dx10_clamp 1
		.amdhsa_ieee_mode 1
		.amdhsa_fp16_overflow 0
		.amdhsa_workgroup_processor_mode 1
		.amdhsa_memory_ordered 1
		.amdhsa_forward_progress 0
		.amdhsa_shared_vgpr_count 0
		.amdhsa_exception_fp_ieee_invalid_op 0
		.amdhsa_exception_fp_denorm_src 0
		.amdhsa_exception_fp_ieee_div_zero 0
		.amdhsa_exception_fp_ieee_overflow 0
		.amdhsa_exception_fp_ieee_underflow 0
		.amdhsa_exception_fp_ieee_inexact 0
		.amdhsa_exception_int_div_zero 0
	.end_amdhsa_kernel
	.section	.text._ZN5aiter13wvSplitKQ_hf_I6__halfhLi64ELi7ELi16ELi16ELi1ELi4EEEviiiPKT0_S4_PT_PKfS8_ii,"axG",@progbits,_ZN5aiter13wvSplitKQ_hf_I6__halfhLi64ELi7ELi16ELi16ELi1ELi4EEEviiiPKT0_S4_PT_PKfS8_ii,comdat
.Lfunc_end75:
	.size	_ZN5aiter13wvSplitKQ_hf_I6__halfhLi64ELi7ELi16ELi16ELi1ELi4EEEviiiPKT0_S4_PT_PKfS8_ii, .Lfunc_end75-_ZN5aiter13wvSplitKQ_hf_I6__halfhLi64ELi7ELi16ELi16ELi1ELi4EEEviiiPKT0_S4_PT_PKfS8_ii
                                        ; -- End function
	.section	.AMDGPU.csdata,"",@progbits
; Kernel info:
; codeLenInByte = 76
; NumSgprs: 36
; NumVgprs: 50
; ScratchSize: 64
; MemoryBound: 0
; FloatMode: 240
; IeeeMode: 1
; LDSByteSize: 0 bytes/workgroup (compile time only)
; SGPRBlocks: 4
; VGPRBlocks: 6
; NumSGPRsForWavesPerEU: 36
; NumVGPRsForWavesPerEU: 50
; Occupancy: 16
; WaveLimiterHint : 1
; COMPUTE_PGM_RSRC2:SCRATCH_EN: 1
; COMPUTE_PGM_RSRC2:USER_SGPR: 15
; COMPUTE_PGM_RSRC2:TRAP_HANDLER: 0
; COMPUTE_PGM_RSRC2:TGID_X_EN: 1
; COMPUTE_PGM_RSRC2:TGID_Y_EN: 0
; COMPUTE_PGM_RSRC2:TGID_Z_EN: 0
; COMPUTE_PGM_RSRC2:TIDIG_COMP_CNT: 0
	.section	.text._ZN5aiter17wvSplitKQ_hf_sml_I14__hip_bfloat16hLi64ELi2ELi16ELi16ELi2ELi1EEEviiiPKT0_S4_PT_PKfS8_ii,"axG",@progbits,_ZN5aiter17wvSplitKQ_hf_sml_I14__hip_bfloat16hLi64ELi2ELi16ELi16ELi2ELi1EEEviiiPKT0_S4_PT_PKfS8_ii,comdat
	.protected	_ZN5aiter17wvSplitKQ_hf_sml_I14__hip_bfloat16hLi64ELi2ELi16ELi16ELi2ELi1EEEviiiPKT0_S4_PT_PKfS8_ii ; -- Begin function _ZN5aiter17wvSplitKQ_hf_sml_I14__hip_bfloat16hLi64ELi2ELi16ELi16ELi2ELi1EEEviiiPKT0_S4_PT_PKfS8_ii
	.globl	_ZN5aiter17wvSplitKQ_hf_sml_I14__hip_bfloat16hLi64ELi2ELi16ELi16ELi2ELi1EEEviiiPKT0_S4_PT_PKfS8_ii
	.p2align	8
	.type	_ZN5aiter17wvSplitKQ_hf_sml_I14__hip_bfloat16hLi64ELi2ELi16ELi16ELi2ELi1EEEviiiPKT0_S4_PT_PKfS8_ii,@function
_ZN5aiter17wvSplitKQ_hf_sml_I14__hip_bfloat16hLi64ELi2ELi16ELi16ELi2ELi1EEEviiiPKT0_S4_PT_PKfS8_ii: ; @_ZN5aiter17wvSplitKQ_hf_sml_I14__hip_bfloat16hLi64ELi2ELi16ELi16ELi2ELi1EEEviiiPKT0_S4_PT_PKfS8_ii
; %bb.0:
	s_add_u32 s8, s0, 64
	s_addc_u32 s9, s1, 0
	s_getpc_b64 s[0:1]
	s_add_u32 s0, s0, __PRETTY_FUNCTION__._ZN5aiter17wvSplitKQ_hf_sml_I14__hip_bfloat16hLi64ELi2ELi16ELi16ELi2ELi1EEEviiiPKT0_S4_PT_PKfS8_ii@rel32@lo+4
	s_addc_u32 s1, s1, __PRETTY_FUNCTION__._ZN5aiter17wvSplitKQ_hf_sml_I14__hip_bfloat16hLi64ELi2ELi16ELi16ELi2ELi1EEEviiiPKT0_S4_PT_PKfS8_ii@rel32@hi+12
	v_dual_mov_b32 v0, 0x7c5 :: v_dual_mov_b32 v1, s0
	v_mov_b32_e32 v2, s1
	s_mov_b32 s32, 0
	s_getpc_b64 s[2:3]
	s_add_u32 s2, s2, __assert_fail@rel32@lo+4
	s_addc_u32 s3, s3, __assert_fail@rel32@hi+12
	s_delay_alu instid0(SALU_CYCLE_1)
	s_swappc_b64 s[30:31], s[2:3]
	.section	.rodata,"a",@progbits
	.p2align	6, 0x0
	.amdhsa_kernel _ZN5aiter17wvSplitKQ_hf_sml_I14__hip_bfloat16hLi64ELi2ELi16ELi16ELi2ELi1EEEviiiPKT0_S4_PT_PKfS8_ii
		.amdhsa_group_segment_fixed_size 0
		.amdhsa_private_segment_fixed_size 64
		.amdhsa_kernarg_size 320
		.amdhsa_user_sgpr_count 15
		.amdhsa_user_sgpr_dispatch_ptr 0
		.amdhsa_user_sgpr_queue_ptr 0
		.amdhsa_user_sgpr_kernarg_segment_ptr 1
		.amdhsa_user_sgpr_dispatch_id 0
		.amdhsa_user_sgpr_private_segment_size 0
		.amdhsa_wavefront_size32 1
		.amdhsa_uses_dynamic_stack 0
		.amdhsa_enable_private_segment 1
		.amdhsa_system_sgpr_workgroup_id_x 1
		.amdhsa_system_sgpr_workgroup_id_y 0
		.amdhsa_system_sgpr_workgroup_id_z 0
		.amdhsa_system_sgpr_workgroup_info 0
		.amdhsa_system_vgpr_workitem_id 0
		.amdhsa_next_free_vgpr 50
		.amdhsa_next_free_sgpr 34
		.amdhsa_reserve_vcc 1
		.amdhsa_float_round_mode_32 0
		.amdhsa_float_round_mode_16_64 0
		.amdhsa_float_denorm_mode_32 3
		.amdhsa_float_denorm_mode_16_64 3
		.amdhsa_dx10_clamp 1
		.amdhsa_ieee_mode 1
		.amdhsa_fp16_overflow 0
		.amdhsa_workgroup_processor_mode 1
		.amdhsa_memory_ordered 1
		.amdhsa_forward_progress 0
		.amdhsa_shared_vgpr_count 0
		.amdhsa_exception_fp_ieee_invalid_op 0
		.amdhsa_exception_fp_denorm_src 0
		.amdhsa_exception_fp_ieee_div_zero 0
		.amdhsa_exception_fp_ieee_overflow 0
		.amdhsa_exception_fp_ieee_underflow 0
		.amdhsa_exception_fp_ieee_inexact 0
		.amdhsa_exception_int_div_zero 0
	.end_amdhsa_kernel
	.section	.text._ZN5aiter17wvSplitKQ_hf_sml_I14__hip_bfloat16hLi64ELi2ELi16ELi16ELi2ELi1EEEviiiPKT0_S4_PT_PKfS8_ii,"axG",@progbits,_ZN5aiter17wvSplitKQ_hf_sml_I14__hip_bfloat16hLi64ELi2ELi16ELi16ELi2ELi1EEEviiiPKT0_S4_PT_PKfS8_ii,comdat
.Lfunc_end76:
	.size	_ZN5aiter17wvSplitKQ_hf_sml_I14__hip_bfloat16hLi64ELi2ELi16ELi16ELi2ELi1EEEviiiPKT0_S4_PT_PKfS8_ii, .Lfunc_end76-_ZN5aiter17wvSplitKQ_hf_sml_I14__hip_bfloat16hLi64ELi2ELi16ELi16ELi2ELi1EEEviiiPKT0_S4_PT_PKfS8_ii
                                        ; -- End function
	.section	.AMDGPU.csdata,"",@progbits
; Kernel info:
; codeLenInByte = 76
; NumSgprs: 36
; NumVgprs: 50
; ScratchSize: 64
; MemoryBound: 0
; FloatMode: 240
; IeeeMode: 1
; LDSByteSize: 0 bytes/workgroup (compile time only)
; SGPRBlocks: 4
; VGPRBlocks: 6
; NumSGPRsForWavesPerEU: 36
; NumVGPRsForWavesPerEU: 50
; Occupancy: 16
; WaveLimiterHint : 1
; COMPUTE_PGM_RSRC2:SCRATCH_EN: 1
; COMPUTE_PGM_RSRC2:USER_SGPR: 15
; COMPUTE_PGM_RSRC2:TRAP_HANDLER: 0
; COMPUTE_PGM_RSRC2:TGID_X_EN: 1
; COMPUTE_PGM_RSRC2:TGID_Y_EN: 0
; COMPUTE_PGM_RSRC2:TGID_Z_EN: 0
; COMPUTE_PGM_RSRC2:TIDIG_COMP_CNT: 0
	.section	.text._ZN5aiter13wvSplitKQ_hf_I14__hip_bfloat16hLi64ELi2ELi16ELi16ELi2ELi1EEEviiiPKT0_S4_PT_PKfS8_ii,"axG",@progbits,_ZN5aiter13wvSplitKQ_hf_I14__hip_bfloat16hLi64ELi2ELi16ELi16ELi2ELi1EEEviiiPKT0_S4_PT_PKfS8_ii,comdat
	.protected	_ZN5aiter13wvSplitKQ_hf_I14__hip_bfloat16hLi64ELi2ELi16ELi16ELi2ELi1EEEviiiPKT0_S4_PT_PKfS8_ii ; -- Begin function _ZN5aiter13wvSplitKQ_hf_I14__hip_bfloat16hLi64ELi2ELi16ELi16ELi2ELi1EEEviiiPKT0_S4_PT_PKfS8_ii
	.globl	_ZN5aiter13wvSplitKQ_hf_I14__hip_bfloat16hLi64ELi2ELi16ELi16ELi2ELi1EEEviiiPKT0_S4_PT_PKfS8_ii
	.p2align	8
	.type	_ZN5aiter13wvSplitKQ_hf_I14__hip_bfloat16hLi64ELi2ELi16ELi16ELi2ELi1EEEviiiPKT0_S4_PT_PKfS8_ii,@function
_ZN5aiter13wvSplitKQ_hf_I14__hip_bfloat16hLi64ELi2ELi16ELi16ELi2ELi1EEEviiiPKT0_S4_PT_PKfS8_ii: ; @_ZN5aiter13wvSplitKQ_hf_I14__hip_bfloat16hLi64ELi2ELi16ELi16ELi2ELi1EEEviiiPKT0_S4_PT_PKfS8_ii
; %bb.0:
	s_add_u32 s8, s0, 64
	s_addc_u32 s9, s1, 0
	s_getpc_b64 s[0:1]
	s_add_u32 s0, s0, __PRETTY_FUNCTION__._ZN5aiter13wvSplitKQ_hf_I14__hip_bfloat16hLi64ELi2ELi16ELi16ELi2ELi1EEEviiiPKT0_S4_PT_PKfS8_ii@rel32@lo+4
	s_addc_u32 s1, s1, __PRETTY_FUNCTION__._ZN5aiter13wvSplitKQ_hf_I14__hip_bfloat16hLi64ELi2ELi16ELi16ELi2ELi1EEEviiiPKT0_S4_PT_PKfS8_ii@rel32@hi+12
	v_dual_mov_b32 v0, 0x89e :: v_dual_mov_b32 v1, s0
	v_mov_b32_e32 v2, s1
	s_mov_b32 s32, 0
	s_getpc_b64 s[2:3]
	s_add_u32 s2, s2, __assert_fail@rel32@lo+4
	s_addc_u32 s3, s3, __assert_fail@rel32@hi+12
	s_delay_alu instid0(SALU_CYCLE_1)
	s_swappc_b64 s[30:31], s[2:3]
	.section	.rodata,"a",@progbits
	.p2align	6, 0x0
	.amdhsa_kernel _ZN5aiter13wvSplitKQ_hf_I14__hip_bfloat16hLi64ELi2ELi16ELi16ELi2ELi1EEEviiiPKT0_S4_PT_PKfS8_ii
		.amdhsa_group_segment_fixed_size 0
		.amdhsa_private_segment_fixed_size 64
		.amdhsa_kernarg_size 320
		.amdhsa_user_sgpr_count 15
		.amdhsa_user_sgpr_dispatch_ptr 0
		.amdhsa_user_sgpr_queue_ptr 0
		.amdhsa_user_sgpr_kernarg_segment_ptr 1
		.amdhsa_user_sgpr_dispatch_id 0
		.amdhsa_user_sgpr_private_segment_size 0
		.amdhsa_wavefront_size32 1
		.amdhsa_uses_dynamic_stack 0
		.amdhsa_enable_private_segment 1
		.amdhsa_system_sgpr_workgroup_id_x 1
		.amdhsa_system_sgpr_workgroup_id_y 0
		.amdhsa_system_sgpr_workgroup_id_z 0
		.amdhsa_system_sgpr_workgroup_info 0
		.amdhsa_system_vgpr_workitem_id 0
		.amdhsa_next_free_vgpr 50
		.amdhsa_next_free_sgpr 34
		.amdhsa_reserve_vcc 1
		.amdhsa_float_round_mode_32 0
		.amdhsa_float_round_mode_16_64 0
		.amdhsa_float_denorm_mode_32 3
		.amdhsa_float_denorm_mode_16_64 3
		.amdhsa_dx10_clamp 1
		.amdhsa_ieee_mode 1
		.amdhsa_fp16_overflow 0
		.amdhsa_workgroup_processor_mode 1
		.amdhsa_memory_ordered 1
		.amdhsa_forward_progress 0
		.amdhsa_shared_vgpr_count 0
		.amdhsa_exception_fp_ieee_invalid_op 0
		.amdhsa_exception_fp_denorm_src 0
		.amdhsa_exception_fp_ieee_div_zero 0
		.amdhsa_exception_fp_ieee_overflow 0
		.amdhsa_exception_fp_ieee_underflow 0
		.amdhsa_exception_fp_ieee_inexact 0
		.amdhsa_exception_int_div_zero 0
	.end_amdhsa_kernel
	.section	.text._ZN5aiter13wvSplitKQ_hf_I14__hip_bfloat16hLi64ELi2ELi16ELi16ELi2ELi1EEEviiiPKT0_S4_PT_PKfS8_ii,"axG",@progbits,_ZN5aiter13wvSplitKQ_hf_I14__hip_bfloat16hLi64ELi2ELi16ELi16ELi2ELi1EEEviiiPKT0_S4_PT_PKfS8_ii,comdat
.Lfunc_end77:
	.size	_ZN5aiter13wvSplitKQ_hf_I14__hip_bfloat16hLi64ELi2ELi16ELi16ELi2ELi1EEEviiiPKT0_S4_PT_PKfS8_ii, .Lfunc_end77-_ZN5aiter13wvSplitKQ_hf_I14__hip_bfloat16hLi64ELi2ELi16ELi16ELi2ELi1EEEviiiPKT0_S4_PT_PKfS8_ii
                                        ; -- End function
	.section	.AMDGPU.csdata,"",@progbits
; Kernel info:
; codeLenInByte = 76
; NumSgprs: 36
; NumVgprs: 50
; ScratchSize: 64
; MemoryBound: 0
; FloatMode: 240
; IeeeMode: 1
; LDSByteSize: 0 bytes/workgroup (compile time only)
; SGPRBlocks: 4
; VGPRBlocks: 6
; NumSGPRsForWavesPerEU: 36
; NumVGPRsForWavesPerEU: 50
; Occupancy: 16
; WaveLimiterHint : 1
; COMPUTE_PGM_RSRC2:SCRATCH_EN: 1
; COMPUTE_PGM_RSRC2:USER_SGPR: 15
; COMPUTE_PGM_RSRC2:TRAP_HANDLER: 0
; COMPUTE_PGM_RSRC2:TGID_X_EN: 1
; COMPUTE_PGM_RSRC2:TGID_Y_EN: 0
; COMPUTE_PGM_RSRC2:TGID_Z_EN: 0
; COMPUTE_PGM_RSRC2:TIDIG_COMP_CNT: 0
	.section	.text._ZN5aiter17wvSplitKQ_hf_sml_I14__hip_bfloat16hLi64ELi2ELi16ELi16ELi2ELi2EEEviiiPKT0_S4_PT_PKfS8_ii,"axG",@progbits,_ZN5aiter17wvSplitKQ_hf_sml_I14__hip_bfloat16hLi64ELi2ELi16ELi16ELi2ELi2EEEviiiPKT0_S4_PT_PKfS8_ii,comdat
	.protected	_ZN5aiter17wvSplitKQ_hf_sml_I14__hip_bfloat16hLi64ELi2ELi16ELi16ELi2ELi2EEEviiiPKT0_S4_PT_PKfS8_ii ; -- Begin function _ZN5aiter17wvSplitKQ_hf_sml_I14__hip_bfloat16hLi64ELi2ELi16ELi16ELi2ELi2EEEviiiPKT0_S4_PT_PKfS8_ii
	.globl	_ZN5aiter17wvSplitKQ_hf_sml_I14__hip_bfloat16hLi64ELi2ELi16ELi16ELi2ELi2EEEviiiPKT0_S4_PT_PKfS8_ii
	.p2align	8
	.type	_ZN5aiter17wvSplitKQ_hf_sml_I14__hip_bfloat16hLi64ELi2ELi16ELi16ELi2ELi2EEEviiiPKT0_S4_PT_PKfS8_ii,@function
_ZN5aiter17wvSplitKQ_hf_sml_I14__hip_bfloat16hLi64ELi2ELi16ELi16ELi2ELi2EEEviiiPKT0_S4_PT_PKfS8_ii: ; @_ZN5aiter17wvSplitKQ_hf_sml_I14__hip_bfloat16hLi64ELi2ELi16ELi16ELi2ELi2EEEviiiPKT0_S4_PT_PKfS8_ii
; %bb.0:
	s_add_u32 s8, s0, 64
	s_addc_u32 s9, s1, 0
	s_getpc_b64 s[0:1]
	s_add_u32 s0, s0, __PRETTY_FUNCTION__._ZN5aiter17wvSplitKQ_hf_sml_I14__hip_bfloat16hLi64ELi2ELi16ELi16ELi2ELi2EEEviiiPKT0_S4_PT_PKfS8_ii@rel32@lo+4
	s_addc_u32 s1, s1, __PRETTY_FUNCTION__._ZN5aiter17wvSplitKQ_hf_sml_I14__hip_bfloat16hLi64ELi2ELi16ELi16ELi2ELi2EEEviiiPKT0_S4_PT_PKfS8_ii@rel32@hi+12
	v_dual_mov_b32 v0, 0x7c5 :: v_dual_mov_b32 v1, s0
	v_mov_b32_e32 v2, s1
	s_mov_b32 s32, 0
	s_getpc_b64 s[2:3]
	s_add_u32 s2, s2, __assert_fail@rel32@lo+4
	s_addc_u32 s3, s3, __assert_fail@rel32@hi+12
	s_delay_alu instid0(SALU_CYCLE_1)
	s_swappc_b64 s[30:31], s[2:3]
	.section	.rodata,"a",@progbits
	.p2align	6, 0x0
	.amdhsa_kernel _ZN5aiter17wvSplitKQ_hf_sml_I14__hip_bfloat16hLi64ELi2ELi16ELi16ELi2ELi2EEEviiiPKT0_S4_PT_PKfS8_ii
		.amdhsa_group_segment_fixed_size 0
		.amdhsa_private_segment_fixed_size 64
		.amdhsa_kernarg_size 320
		.amdhsa_user_sgpr_count 15
		.amdhsa_user_sgpr_dispatch_ptr 0
		.amdhsa_user_sgpr_queue_ptr 0
		.amdhsa_user_sgpr_kernarg_segment_ptr 1
		.amdhsa_user_sgpr_dispatch_id 0
		.amdhsa_user_sgpr_private_segment_size 0
		.amdhsa_wavefront_size32 1
		.amdhsa_uses_dynamic_stack 0
		.amdhsa_enable_private_segment 1
		.amdhsa_system_sgpr_workgroup_id_x 1
		.amdhsa_system_sgpr_workgroup_id_y 0
		.amdhsa_system_sgpr_workgroup_id_z 0
		.amdhsa_system_sgpr_workgroup_info 0
		.amdhsa_system_vgpr_workitem_id 0
		.amdhsa_next_free_vgpr 50
		.amdhsa_next_free_sgpr 34
		.amdhsa_reserve_vcc 1
		.amdhsa_float_round_mode_32 0
		.amdhsa_float_round_mode_16_64 0
		.amdhsa_float_denorm_mode_32 3
		.amdhsa_float_denorm_mode_16_64 3
		.amdhsa_dx10_clamp 1
		.amdhsa_ieee_mode 1
		.amdhsa_fp16_overflow 0
		.amdhsa_workgroup_processor_mode 1
		.amdhsa_memory_ordered 1
		.amdhsa_forward_progress 0
		.amdhsa_shared_vgpr_count 0
		.amdhsa_exception_fp_ieee_invalid_op 0
		.amdhsa_exception_fp_denorm_src 0
		.amdhsa_exception_fp_ieee_div_zero 0
		.amdhsa_exception_fp_ieee_overflow 0
		.amdhsa_exception_fp_ieee_underflow 0
		.amdhsa_exception_fp_ieee_inexact 0
		.amdhsa_exception_int_div_zero 0
	.end_amdhsa_kernel
	.section	.text._ZN5aiter17wvSplitKQ_hf_sml_I14__hip_bfloat16hLi64ELi2ELi16ELi16ELi2ELi2EEEviiiPKT0_S4_PT_PKfS8_ii,"axG",@progbits,_ZN5aiter17wvSplitKQ_hf_sml_I14__hip_bfloat16hLi64ELi2ELi16ELi16ELi2ELi2EEEviiiPKT0_S4_PT_PKfS8_ii,comdat
.Lfunc_end78:
	.size	_ZN5aiter17wvSplitKQ_hf_sml_I14__hip_bfloat16hLi64ELi2ELi16ELi16ELi2ELi2EEEviiiPKT0_S4_PT_PKfS8_ii, .Lfunc_end78-_ZN5aiter17wvSplitKQ_hf_sml_I14__hip_bfloat16hLi64ELi2ELi16ELi16ELi2ELi2EEEviiiPKT0_S4_PT_PKfS8_ii
                                        ; -- End function
	.section	.AMDGPU.csdata,"",@progbits
; Kernel info:
; codeLenInByte = 76
; NumSgprs: 36
; NumVgprs: 50
; ScratchSize: 64
; MemoryBound: 0
; FloatMode: 240
; IeeeMode: 1
; LDSByteSize: 0 bytes/workgroup (compile time only)
; SGPRBlocks: 4
; VGPRBlocks: 6
; NumSGPRsForWavesPerEU: 36
; NumVGPRsForWavesPerEU: 50
; Occupancy: 16
; WaveLimiterHint : 1
; COMPUTE_PGM_RSRC2:SCRATCH_EN: 1
; COMPUTE_PGM_RSRC2:USER_SGPR: 15
; COMPUTE_PGM_RSRC2:TRAP_HANDLER: 0
; COMPUTE_PGM_RSRC2:TGID_X_EN: 1
; COMPUTE_PGM_RSRC2:TGID_Y_EN: 0
; COMPUTE_PGM_RSRC2:TGID_Z_EN: 0
; COMPUTE_PGM_RSRC2:TIDIG_COMP_CNT: 0
	.section	.text._ZN5aiter13wvSplitKQ_hf_I14__hip_bfloat16hLi64ELi2ELi16ELi16ELi2ELi2EEEviiiPKT0_S4_PT_PKfS8_ii,"axG",@progbits,_ZN5aiter13wvSplitKQ_hf_I14__hip_bfloat16hLi64ELi2ELi16ELi16ELi2ELi2EEEviiiPKT0_S4_PT_PKfS8_ii,comdat
	.protected	_ZN5aiter13wvSplitKQ_hf_I14__hip_bfloat16hLi64ELi2ELi16ELi16ELi2ELi2EEEviiiPKT0_S4_PT_PKfS8_ii ; -- Begin function _ZN5aiter13wvSplitKQ_hf_I14__hip_bfloat16hLi64ELi2ELi16ELi16ELi2ELi2EEEviiiPKT0_S4_PT_PKfS8_ii
	.globl	_ZN5aiter13wvSplitKQ_hf_I14__hip_bfloat16hLi64ELi2ELi16ELi16ELi2ELi2EEEviiiPKT0_S4_PT_PKfS8_ii
	.p2align	8
	.type	_ZN5aiter13wvSplitKQ_hf_I14__hip_bfloat16hLi64ELi2ELi16ELi16ELi2ELi2EEEviiiPKT0_S4_PT_PKfS8_ii,@function
_ZN5aiter13wvSplitKQ_hf_I14__hip_bfloat16hLi64ELi2ELi16ELi16ELi2ELi2EEEviiiPKT0_S4_PT_PKfS8_ii: ; @_ZN5aiter13wvSplitKQ_hf_I14__hip_bfloat16hLi64ELi2ELi16ELi16ELi2ELi2EEEviiiPKT0_S4_PT_PKfS8_ii
; %bb.0:
	s_add_u32 s8, s0, 64
	s_addc_u32 s9, s1, 0
	s_getpc_b64 s[0:1]
	s_add_u32 s0, s0, __PRETTY_FUNCTION__._ZN5aiter13wvSplitKQ_hf_I14__hip_bfloat16hLi64ELi2ELi16ELi16ELi2ELi2EEEviiiPKT0_S4_PT_PKfS8_ii@rel32@lo+4
	s_addc_u32 s1, s1, __PRETTY_FUNCTION__._ZN5aiter13wvSplitKQ_hf_I14__hip_bfloat16hLi64ELi2ELi16ELi16ELi2ELi2EEEviiiPKT0_S4_PT_PKfS8_ii@rel32@hi+12
	v_dual_mov_b32 v0, 0x89e :: v_dual_mov_b32 v1, s0
	v_mov_b32_e32 v2, s1
	s_mov_b32 s32, 0
	s_getpc_b64 s[2:3]
	s_add_u32 s2, s2, __assert_fail@rel32@lo+4
	s_addc_u32 s3, s3, __assert_fail@rel32@hi+12
	s_delay_alu instid0(SALU_CYCLE_1)
	s_swappc_b64 s[30:31], s[2:3]
	.section	.rodata,"a",@progbits
	.p2align	6, 0x0
	.amdhsa_kernel _ZN5aiter13wvSplitKQ_hf_I14__hip_bfloat16hLi64ELi2ELi16ELi16ELi2ELi2EEEviiiPKT0_S4_PT_PKfS8_ii
		.amdhsa_group_segment_fixed_size 0
		.amdhsa_private_segment_fixed_size 64
		.amdhsa_kernarg_size 320
		.amdhsa_user_sgpr_count 15
		.amdhsa_user_sgpr_dispatch_ptr 0
		.amdhsa_user_sgpr_queue_ptr 0
		.amdhsa_user_sgpr_kernarg_segment_ptr 1
		.amdhsa_user_sgpr_dispatch_id 0
		.amdhsa_user_sgpr_private_segment_size 0
		.amdhsa_wavefront_size32 1
		.amdhsa_uses_dynamic_stack 0
		.amdhsa_enable_private_segment 1
		.amdhsa_system_sgpr_workgroup_id_x 1
		.amdhsa_system_sgpr_workgroup_id_y 0
		.amdhsa_system_sgpr_workgroup_id_z 0
		.amdhsa_system_sgpr_workgroup_info 0
		.amdhsa_system_vgpr_workitem_id 0
		.amdhsa_next_free_vgpr 50
		.amdhsa_next_free_sgpr 34
		.amdhsa_reserve_vcc 1
		.amdhsa_float_round_mode_32 0
		.amdhsa_float_round_mode_16_64 0
		.amdhsa_float_denorm_mode_32 3
		.amdhsa_float_denorm_mode_16_64 3
		.amdhsa_dx10_clamp 1
		.amdhsa_ieee_mode 1
		.amdhsa_fp16_overflow 0
		.amdhsa_workgroup_processor_mode 1
		.amdhsa_memory_ordered 1
		.amdhsa_forward_progress 0
		.amdhsa_shared_vgpr_count 0
		.amdhsa_exception_fp_ieee_invalid_op 0
		.amdhsa_exception_fp_denorm_src 0
		.amdhsa_exception_fp_ieee_div_zero 0
		.amdhsa_exception_fp_ieee_overflow 0
		.amdhsa_exception_fp_ieee_underflow 0
		.amdhsa_exception_fp_ieee_inexact 0
		.amdhsa_exception_int_div_zero 0
	.end_amdhsa_kernel
	.section	.text._ZN5aiter13wvSplitKQ_hf_I14__hip_bfloat16hLi64ELi2ELi16ELi16ELi2ELi2EEEviiiPKT0_S4_PT_PKfS8_ii,"axG",@progbits,_ZN5aiter13wvSplitKQ_hf_I14__hip_bfloat16hLi64ELi2ELi16ELi16ELi2ELi2EEEviiiPKT0_S4_PT_PKfS8_ii,comdat
.Lfunc_end79:
	.size	_ZN5aiter13wvSplitKQ_hf_I14__hip_bfloat16hLi64ELi2ELi16ELi16ELi2ELi2EEEviiiPKT0_S4_PT_PKfS8_ii, .Lfunc_end79-_ZN5aiter13wvSplitKQ_hf_I14__hip_bfloat16hLi64ELi2ELi16ELi16ELi2ELi2EEEviiiPKT0_S4_PT_PKfS8_ii
                                        ; -- End function
	.section	.AMDGPU.csdata,"",@progbits
; Kernel info:
; codeLenInByte = 76
; NumSgprs: 36
; NumVgprs: 50
; ScratchSize: 64
; MemoryBound: 0
; FloatMode: 240
; IeeeMode: 1
; LDSByteSize: 0 bytes/workgroup (compile time only)
; SGPRBlocks: 4
; VGPRBlocks: 6
; NumSGPRsForWavesPerEU: 36
; NumVGPRsForWavesPerEU: 50
; Occupancy: 16
; WaveLimiterHint : 1
; COMPUTE_PGM_RSRC2:SCRATCH_EN: 1
; COMPUTE_PGM_RSRC2:USER_SGPR: 15
; COMPUTE_PGM_RSRC2:TRAP_HANDLER: 0
; COMPUTE_PGM_RSRC2:TGID_X_EN: 1
; COMPUTE_PGM_RSRC2:TGID_Y_EN: 0
; COMPUTE_PGM_RSRC2:TGID_Z_EN: 0
; COMPUTE_PGM_RSRC2:TIDIG_COMP_CNT: 0
	.section	.text._ZN5aiter17wvSplitKQ_hf_sml_I14__hip_bfloat16hLi64ELi4ELi16ELi16ELi1ELi3EEEviiiPKT0_S4_PT_PKfS8_ii,"axG",@progbits,_ZN5aiter17wvSplitKQ_hf_sml_I14__hip_bfloat16hLi64ELi4ELi16ELi16ELi1ELi3EEEviiiPKT0_S4_PT_PKfS8_ii,comdat
	.protected	_ZN5aiter17wvSplitKQ_hf_sml_I14__hip_bfloat16hLi64ELi4ELi16ELi16ELi1ELi3EEEviiiPKT0_S4_PT_PKfS8_ii ; -- Begin function _ZN5aiter17wvSplitKQ_hf_sml_I14__hip_bfloat16hLi64ELi4ELi16ELi16ELi1ELi3EEEviiiPKT0_S4_PT_PKfS8_ii
	.globl	_ZN5aiter17wvSplitKQ_hf_sml_I14__hip_bfloat16hLi64ELi4ELi16ELi16ELi1ELi3EEEviiiPKT0_S4_PT_PKfS8_ii
	.p2align	8
	.type	_ZN5aiter17wvSplitKQ_hf_sml_I14__hip_bfloat16hLi64ELi4ELi16ELi16ELi1ELi3EEEviiiPKT0_S4_PT_PKfS8_ii,@function
_ZN5aiter17wvSplitKQ_hf_sml_I14__hip_bfloat16hLi64ELi4ELi16ELi16ELi1ELi3EEEviiiPKT0_S4_PT_PKfS8_ii: ; @_ZN5aiter17wvSplitKQ_hf_sml_I14__hip_bfloat16hLi64ELi4ELi16ELi16ELi1ELi3EEEviiiPKT0_S4_PT_PKfS8_ii
; %bb.0:
	s_add_u32 s8, s0, 64
	s_addc_u32 s9, s1, 0
	s_getpc_b64 s[0:1]
	s_add_u32 s0, s0, __PRETTY_FUNCTION__._ZN5aiter17wvSplitKQ_hf_sml_I14__hip_bfloat16hLi64ELi4ELi16ELi16ELi1ELi3EEEviiiPKT0_S4_PT_PKfS8_ii@rel32@lo+4
	s_addc_u32 s1, s1, __PRETTY_FUNCTION__._ZN5aiter17wvSplitKQ_hf_sml_I14__hip_bfloat16hLi64ELi4ELi16ELi16ELi1ELi3EEEviiiPKT0_S4_PT_PKfS8_ii@rel32@hi+12
	v_dual_mov_b32 v0, 0x7c5 :: v_dual_mov_b32 v1, s0
	v_mov_b32_e32 v2, s1
	s_mov_b32 s32, 0
	s_getpc_b64 s[2:3]
	s_add_u32 s2, s2, __assert_fail@rel32@lo+4
	s_addc_u32 s3, s3, __assert_fail@rel32@hi+12
	s_delay_alu instid0(SALU_CYCLE_1)
	s_swappc_b64 s[30:31], s[2:3]
	.section	.rodata,"a",@progbits
	.p2align	6, 0x0
	.amdhsa_kernel _ZN5aiter17wvSplitKQ_hf_sml_I14__hip_bfloat16hLi64ELi4ELi16ELi16ELi1ELi3EEEviiiPKT0_S4_PT_PKfS8_ii
		.amdhsa_group_segment_fixed_size 0
		.amdhsa_private_segment_fixed_size 64
		.amdhsa_kernarg_size 320
		.amdhsa_user_sgpr_count 15
		.amdhsa_user_sgpr_dispatch_ptr 0
		.amdhsa_user_sgpr_queue_ptr 0
		.amdhsa_user_sgpr_kernarg_segment_ptr 1
		.amdhsa_user_sgpr_dispatch_id 0
		.amdhsa_user_sgpr_private_segment_size 0
		.amdhsa_wavefront_size32 1
		.amdhsa_uses_dynamic_stack 0
		.amdhsa_enable_private_segment 1
		.amdhsa_system_sgpr_workgroup_id_x 1
		.amdhsa_system_sgpr_workgroup_id_y 0
		.amdhsa_system_sgpr_workgroup_id_z 0
		.amdhsa_system_sgpr_workgroup_info 0
		.amdhsa_system_vgpr_workitem_id 0
		.amdhsa_next_free_vgpr 50
		.amdhsa_next_free_sgpr 34
		.amdhsa_reserve_vcc 1
		.amdhsa_float_round_mode_32 0
		.amdhsa_float_round_mode_16_64 0
		.amdhsa_float_denorm_mode_32 3
		.amdhsa_float_denorm_mode_16_64 3
		.amdhsa_dx10_clamp 1
		.amdhsa_ieee_mode 1
		.amdhsa_fp16_overflow 0
		.amdhsa_workgroup_processor_mode 1
		.amdhsa_memory_ordered 1
		.amdhsa_forward_progress 0
		.amdhsa_shared_vgpr_count 0
		.amdhsa_exception_fp_ieee_invalid_op 0
		.amdhsa_exception_fp_denorm_src 0
		.amdhsa_exception_fp_ieee_div_zero 0
		.amdhsa_exception_fp_ieee_overflow 0
		.amdhsa_exception_fp_ieee_underflow 0
		.amdhsa_exception_fp_ieee_inexact 0
		.amdhsa_exception_int_div_zero 0
	.end_amdhsa_kernel
	.section	.text._ZN5aiter17wvSplitKQ_hf_sml_I14__hip_bfloat16hLi64ELi4ELi16ELi16ELi1ELi3EEEviiiPKT0_S4_PT_PKfS8_ii,"axG",@progbits,_ZN5aiter17wvSplitKQ_hf_sml_I14__hip_bfloat16hLi64ELi4ELi16ELi16ELi1ELi3EEEviiiPKT0_S4_PT_PKfS8_ii,comdat
.Lfunc_end80:
	.size	_ZN5aiter17wvSplitKQ_hf_sml_I14__hip_bfloat16hLi64ELi4ELi16ELi16ELi1ELi3EEEviiiPKT0_S4_PT_PKfS8_ii, .Lfunc_end80-_ZN5aiter17wvSplitKQ_hf_sml_I14__hip_bfloat16hLi64ELi4ELi16ELi16ELi1ELi3EEEviiiPKT0_S4_PT_PKfS8_ii
                                        ; -- End function
	.section	.AMDGPU.csdata,"",@progbits
; Kernel info:
; codeLenInByte = 76
; NumSgprs: 36
; NumVgprs: 50
; ScratchSize: 64
; MemoryBound: 0
; FloatMode: 240
; IeeeMode: 1
; LDSByteSize: 0 bytes/workgroup (compile time only)
; SGPRBlocks: 4
; VGPRBlocks: 6
; NumSGPRsForWavesPerEU: 36
; NumVGPRsForWavesPerEU: 50
; Occupancy: 16
; WaveLimiterHint : 1
; COMPUTE_PGM_RSRC2:SCRATCH_EN: 1
; COMPUTE_PGM_RSRC2:USER_SGPR: 15
; COMPUTE_PGM_RSRC2:TRAP_HANDLER: 0
; COMPUTE_PGM_RSRC2:TGID_X_EN: 1
; COMPUTE_PGM_RSRC2:TGID_Y_EN: 0
; COMPUTE_PGM_RSRC2:TGID_Z_EN: 0
; COMPUTE_PGM_RSRC2:TIDIG_COMP_CNT: 0
	.section	.text._ZN5aiter13wvSplitKQ_hf_I14__hip_bfloat16hLi64ELi7ELi16ELi16ELi1ELi3EEEviiiPKT0_S4_PT_PKfS8_ii,"axG",@progbits,_ZN5aiter13wvSplitKQ_hf_I14__hip_bfloat16hLi64ELi7ELi16ELi16ELi1ELi3EEEviiiPKT0_S4_PT_PKfS8_ii,comdat
	.protected	_ZN5aiter13wvSplitKQ_hf_I14__hip_bfloat16hLi64ELi7ELi16ELi16ELi1ELi3EEEviiiPKT0_S4_PT_PKfS8_ii ; -- Begin function _ZN5aiter13wvSplitKQ_hf_I14__hip_bfloat16hLi64ELi7ELi16ELi16ELi1ELi3EEEviiiPKT0_S4_PT_PKfS8_ii
	.globl	_ZN5aiter13wvSplitKQ_hf_I14__hip_bfloat16hLi64ELi7ELi16ELi16ELi1ELi3EEEviiiPKT0_S4_PT_PKfS8_ii
	.p2align	8
	.type	_ZN5aiter13wvSplitKQ_hf_I14__hip_bfloat16hLi64ELi7ELi16ELi16ELi1ELi3EEEviiiPKT0_S4_PT_PKfS8_ii,@function
_ZN5aiter13wvSplitKQ_hf_I14__hip_bfloat16hLi64ELi7ELi16ELi16ELi1ELi3EEEviiiPKT0_S4_PT_PKfS8_ii: ; @_ZN5aiter13wvSplitKQ_hf_I14__hip_bfloat16hLi64ELi7ELi16ELi16ELi1ELi3EEEviiiPKT0_S4_PT_PKfS8_ii
; %bb.0:
	s_add_u32 s8, s0, 64
	s_addc_u32 s9, s1, 0
	s_getpc_b64 s[0:1]
	s_add_u32 s0, s0, __PRETTY_FUNCTION__._ZN5aiter13wvSplitKQ_hf_I14__hip_bfloat16hLi64ELi7ELi16ELi16ELi1ELi3EEEviiiPKT0_S4_PT_PKfS8_ii@rel32@lo+4
	s_addc_u32 s1, s1, __PRETTY_FUNCTION__._ZN5aiter13wvSplitKQ_hf_I14__hip_bfloat16hLi64ELi7ELi16ELi16ELi1ELi3EEEviiiPKT0_S4_PT_PKfS8_ii@rel32@hi+12
	v_dual_mov_b32 v0, 0x89e :: v_dual_mov_b32 v1, s0
	v_mov_b32_e32 v2, s1
	s_mov_b32 s32, 0
	s_getpc_b64 s[2:3]
	s_add_u32 s2, s2, __assert_fail@rel32@lo+4
	s_addc_u32 s3, s3, __assert_fail@rel32@hi+12
	s_delay_alu instid0(SALU_CYCLE_1)
	s_swappc_b64 s[30:31], s[2:3]
	.section	.rodata,"a",@progbits
	.p2align	6, 0x0
	.amdhsa_kernel _ZN5aiter13wvSplitKQ_hf_I14__hip_bfloat16hLi64ELi7ELi16ELi16ELi1ELi3EEEviiiPKT0_S4_PT_PKfS8_ii
		.amdhsa_group_segment_fixed_size 0
		.amdhsa_private_segment_fixed_size 64
		.amdhsa_kernarg_size 320
		.amdhsa_user_sgpr_count 15
		.amdhsa_user_sgpr_dispatch_ptr 0
		.amdhsa_user_sgpr_queue_ptr 0
		.amdhsa_user_sgpr_kernarg_segment_ptr 1
		.amdhsa_user_sgpr_dispatch_id 0
		.amdhsa_user_sgpr_private_segment_size 0
		.amdhsa_wavefront_size32 1
		.amdhsa_uses_dynamic_stack 0
		.amdhsa_enable_private_segment 1
		.amdhsa_system_sgpr_workgroup_id_x 1
		.amdhsa_system_sgpr_workgroup_id_y 0
		.amdhsa_system_sgpr_workgroup_id_z 0
		.amdhsa_system_sgpr_workgroup_info 0
		.amdhsa_system_vgpr_workitem_id 0
		.amdhsa_next_free_vgpr 50
		.amdhsa_next_free_sgpr 34
		.amdhsa_reserve_vcc 1
		.amdhsa_float_round_mode_32 0
		.amdhsa_float_round_mode_16_64 0
		.amdhsa_float_denorm_mode_32 3
		.amdhsa_float_denorm_mode_16_64 3
		.amdhsa_dx10_clamp 1
		.amdhsa_ieee_mode 1
		.amdhsa_fp16_overflow 0
		.amdhsa_workgroup_processor_mode 1
		.amdhsa_memory_ordered 1
		.amdhsa_forward_progress 0
		.amdhsa_shared_vgpr_count 0
		.amdhsa_exception_fp_ieee_invalid_op 0
		.amdhsa_exception_fp_denorm_src 0
		.amdhsa_exception_fp_ieee_div_zero 0
		.amdhsa_exception_fp_ieee_overflow 0
		.amdhsa_exception_fp_ieee_underflow 0
		.amdhsa_exception_fp_ieee_inexact 0
		.amdhsa_exception_int_div_zero 0
	.end_amdhsa_kernel
	.section	.text._ZN5aiter13wvSplitKQ_hf_I14__hip_bfloat16hLi64ELi7ELi16ELi16ELi1ELi3EEEviiiPKT0_S4_PT_PKfS8_ii,"axG",@progbits,_ZN5aiter13wvSplitKQ_hf_I14__hip_bfloat16hLi64ELi7ELi16ELi16ELi1ELi3EEEviiiPKT0_S4_PT_PKfS8_ii,comdat
.Lfunc_end81:
	.size	_ZN5aiter13wvSplitKQ_hf_I14__hip_bfloat16hLi64ELi7ELi16ELi16ELi1ELi3EEEviiiPKT0_S4_PT_PKfS8_ii, .Lfunc_end81-_ZN5aiter13wvSplitKQ_hf_I14__hip_bfloat16hLi64ELi7ELi16ELi16ELi1ELi3EEEviiiPKT0_S4_PT_PKfS8_ii
                                        ; -- End function
	.section	.AMDGPU.csdata,"",@progbits
; Kernel info:
; codeLenInByte = 76
; NumSgprs: 36
; NumVgprs: 50
; ScratchSize: 64
; MemoryBound: 0
; FloatMode: 240
; IeeeMode: 1
; LDSByteSize: 0 bytes/workgroup (compile time only)
; SGPRBlocks: 4
; VGPRBlocks: 6
; NumSGPRsForWavesPerEU: 36
; NumVGPRsForWavesPerEU: 50
; Occupancy: 16
; WaveLimiterHint : 1
; COMPUTE_PGM_RSRC2:SCRATCH_EN: 1
; COMPUTE_PGM_RSRC2:USER_SGPR: 15
; COMPUTE_PGM_RSRC2:TRAP_HANDLER: 0
; COMPUTE_PGM_RSRC2:TGID_X_EN: 1
; COMPUTE_PGM_RSRC2:TGID_Y_EN: 0
; COMPUTE_PGM_RSRC2:TGID_Z_EN: 0
; COMPUTE_PGM_RSRC2:TIDIG_COMP_CNT: 0
	.section	.text._ZN5aiter17wvSplitKQ_hf_sml_I14__hip_bfloat16hLi64ELi4ELi16ELi16ELi1ELi4EEEviiiPKT0_S4_PT_PKfS8_ii,"axG",@progbits,_ZN5aiter17wvSplitKQ_hf_sml_I14__hip_bfloat16hLi64ELi4ELi16ELi16ELi1ELi4EEEviiiPKT0_S4_PT_PKfS8_ii,comdat
	.protected	_ZN5aiter17wvSplitKQ_hf_sml_I14__hip_bfloat16hLi64ELi4ELi16ELi16ELi1ELi4EEEviiiPKT0_S4_PT_PKfS8_ii ; -- Begin function _ZN5aiter17wvSplitKQ_hf_sml_I14__hip_bfloat16hLi64ELi4ELi16ELi16ELi1ELi4EEEviiiPKT0_S4_PT_PKfS8_ii
	.globl	_ZN5aiter17wvSplitKQ_hf_sml_I14__hip_bfloat16hLi64ELi4ELi16ELi16ELi1ELi4EEEviiiPKT0_S4_PT_PKfS8_ii
	.p2align	8
	.type	_ZN5aiter17wvSplitKQ_hf_sml_I14__hip_bfloat16hLi64ELi4ELi16ELi16ELi1ELi4EEEviiiPKT0_S4_PT_PKfS8_ii,@function
_ZN5aiter17wvSplitKQ_hf_sml_I14__hip_bfloat16hLi64ELi4ELi16ELi16ELi1ELi4EEEviiiPKT0_S4_PT_PKfS8_ii: ; @_ZN5aiter17wvSplitKQ_hf_sml_I14__hip_bfloat16hLi64ELi4ELi16ELi16ELi1ELi4EEEviiiPKT0_S4_PT_PKfS8_ii
; %bb.0:
	s_add_u32 s8, s0, 64
	s_addc_u32 s9, s1, 0
	s_getpc_b64 s[0:1]
	s_add_u32 s0, s0, __PRETTY_FUNCTION__._ZN5aiter17wvSplitKQ_hf_sml_I14__hip_bfloat16hLi64ELi4ELi16ELi16ELi1ELi4EEEviiiPKT0_S4_PT_PKfS8_ii@rel32@lo+4
	s_addc_u32 s1, s1, __PRETTY_FUNCTION__._ZN5aiter17wvSplitKQ_hf_sml_I14__hip_bfloat16hLi64ELi4ELi16ELi16ELi1ELi4EEEviiiPKT0_S4_PT_PKfS8_ii@rel32@hi+12
	v_dual_mov_b32 v0, 0x7c5 :: v_dual_mov_b32 v1, s0
	v_mov_b32_e32 v2, s1
	s_mov_b32 s32, 0
	s_getpc_b64 s[2:3]
	s_add_u32 s2, s2, __assert_fail@rel32@lo+4
	s_addc_u32 s3, s3, __assert_fail@rel32@hi+12
	s_delay_alu instid0(SALU_CYCLE_1)
	s_swappc_b64 s[30:31], s[2:3]
	.section	.rodata,"a",@progbits
	.p2align	6, 0x0
	.amdhsa_kernel _ZN5aiter17wvSplitKQ_hf_sml_I14__hip_bfloat16hLi64ELi4ELi16ELi16ELi1ELi4EEEviiiPKT0_S4_PT_PKfS8_ii
		.amdhsa_group_segment_fixed_size 0
		.amdhsa_private_segment_fixed_size 64
		.amdhsa_kernarg_size 320
		.amdhsa_user_sgpr_count 15
		.amdhsa_user_sgpr_dispatch_ptr 0
		.amdhsa_user_sgpr_queue_ptr 0
		.amdhsa_user_sgpr_kernarg_segment_ptr 1
		.amdhsa_user_sgpr_dispatch_id 0
		.amdhsa_user_sgpr_private_segment_size 0
		.amdhsa_wavefront_size32 1
		.amdhsa_uses_dynamic_stack 0
		.amdhsa_enable_private_segment 1
		.amdhsa_system_sgpr_workgroup_id_x 1
		.amdhsa_system_sgpr_workgroup_id_y 0
		.amdhsa_system_sgpr_workgroup_id_z 0
		.amdhsa_system_sgpr_workgroup_info 0
		.amdhsa_system_vgpr_workitem_id 0
		.amdhsa_next_free_vgpr 50
		.amdhsa_next_free_sgpr 34
		.amdhsa_reserve_vcc 1
		.amdhsa_float_round_mode_32 0
		.amdhsa_float_round_mode_16_64 0
		.amdhsa_float_denorm_mode_32 3
		.amdhsa_float_denorm_mode_16_64 3
		.amdhsa_dx10_clamp 1
		.amdhsa_ieee_mode 1
		.amdhsa_fp16_overflow 0
		.amdhsa_workgroup_processor_mode 1
		.amdhsa_memory_ordered 1
		.amdhsa_forward_progress 0
		.amdhsa_shared_vgpr_count 0
		.amdhsa_exception_fp_ieee_invalid_op 0
		.amdhsa_exception_fp_denorm_src 0
		.amdhsa_exception_fp_ieee_div_zero 0
		.amdhsa_exception_fp_ieee_overflow 0
		.amdhsa_exception_fp_ieee_underflow 0
		.amdhsa_exception_fp_ieee_inexact 0
		.amdhsa_exception_int_div_zero 0
	.end_amdhsa_kernel
	.section	.text._ZN5aiter17wvSplitKQ_hf_sml_I14__hip_bfloat16hLi64ELi4ELi16ELi16ELi1ELi4EEEviiiPKT0_S4_PT_PKfS8_ii,"axG",@progbits,_ZN5aiter17wvSplitKQ_hf_sml_I14__hip_bfloat16hLi64ELi4ELi16ELi16ELi1ELi4EEEviiiPKT0_S4_PT_PKfS8_ii,comdat
.Lfunc_end82:
	.size	_ZN5aiter17wvSplitKQ_hf_sml_I14__hip_bfloat16hLi64ELi4ELi16ELi16ELi1ELi4EEEviiiPKT0_S4_PT_PKfS8_ii, .Lfunc_end82-_ZN5aiter17wvSplitKQ_hf_sml_I14__hip_bfloat16hLi64ELi4ELi16ELi16ELi1ELi4EEEviiiPKT0_S4_PT_PKfS8_ii
                                        ; -- End function
	.section	.AMDGPU.csdata,"",@progbits
; Kernel info:
; codeLenInByte = 76
; NumSgprs: 36
; NumVgprs: 50
; ScratchSize: 64
; MemoryBound: 0
; FloatMode: 240
; IeeeMode: 1
; LDSByteSize: 0 bytes/workgroup (compile time only)
; SGPRBlocks: 4
; VGPRBlocks: 6
; NumSGPRsForWavesPerEU: 36
; NumVGPRsForWavesPerEU: 50
; Occupancy: 16
; WaveLimiterHint : 1
; COMPUTE_PGM_RSRC2:SCRATCH_EN: 1
; COMPUTE_PGM_RSRC2:USER_SGPR: 15
; COMPUTE_PGM_RSRC2:TRAP_HANDLER: 0
; COMPUTE_PGM_RSRC2:TGID_X_EN: 1
; COMPUTE_PGM_RSRC2:TGID_Y_EN: 0
; COMPUTE_PGM_RSRC2:TGID_Z_EN: 0
; COMPUTE_PGM_RSRC2:TIDIG_COMP_CNT: 0
	.section	.text._ZN5aiter13wvSplitKQ_hf_I14__hip_bfloat16hLi64ELi7ELi16ELi16ELi1ELi4EEEviiiPKT0_S4_PT_PKfS8_ii,"axG",@progbits,_ZN5aiter13wvSplitKQ_hf_I14__hip_bfloat16hLi64ELi7ELi16ELi16ELi1ELi4EEEviiiPKT0_S4_PT_PKfS8_ii,comdat
	.protected	_ZN5aiter13wvSplitKQ_hf_I14__hip_bfloat16hLi64ELi7ELi16ELi16ELi1ELi4EEEviiiPKT0_S4_PT_PKfS8_ii ; -- Begin function _ZN5aiter13wvSplitKQ_hf_I14__hip_bfloat16hLi64ELi7ELi16ELi16ELi1ELi4EEEviiiPKT0_S4_PT_PKfS8_ii
	.globl	_ZN5aiter13wvSplitKQ_hf_I14__hip_bfloat16hLi64ELi7ELi16ELi16ELi1ELi4EEEviiiPKT0_S4_PT_PKfS8_ii
	.p2align	8
	.type	_ZN5aiter13wvSplitKQ_hf_I14__hip_bfloat16hLi64ELi7ELi16ELi16ELi1ELi4EEEviiiPKT0_S4_PT_PKfS8_ii,@function
_ZN5aiter13wvSplitKQ_hf_I14__hip_bfloat16hLi64ELi7ELi16ELi16ELi1ELi4EEEviiiPKT0_S4_PT_PKfS8_ii: ; @_ZN5aiter13wvSplitKQ_hf_I14__hip_bfloat16hLi64ELi7ELi16ELi16ELi1ELi4EEEviiiPKT0_S4_PT_PKfS8_ii
; %bb.0:
	s_add_u32 s8, s0, 64
	s_addc_u32 s9, s1, 0
	s_getpc_b64 s[0:1]
	s_add_u32 s0, s0, __PRETTY_FUNCTION__._ZN5aiter13wvSplitKQ_hf_I14__hip_bfloat16hLi64ELi7ELi16ELi16ELi1ELi4EEEviiiPKT0_S4_PT_PKfS8_ii@rel32@lo+4
	s_addc_u32 s1, s1, __PRETTY_FUNCTION__._ZN5aiter13wvSplitKQ_hf_I14__hip_bfloat16hLi64ELi7ELi16ELi16ELi1ELi4EEEviiiPKT0_S4_PT_PKfS8_ii@rel32@hi+12
	v_dual_mov_b32 v0, 0x89e :: v_dual_mov_b32 v1, s0
	v_mov_b32_e32 v2, s1
	s_mov_b32 s32, 0
	s_getpc_b64 s[2:3]
	s_add_u32 s2, s2, __assert_fail@rel32@lo+4
	s_addc_u32 s3, s3, __assert_fail@rel32@hi+12
	s_delay_alu instid0(SALU_CYCLE_1)
	s_swappc_b64 s[30:31], s[2:3]
	.section	.rodata,"a",@progbits
	.p2align	6, 0x0
	.amdhsa_kernel _ZN5aiter13wvSplitKQ_hf_I14__hip_bfloat16hLi64ELi7ELi16ELi16ELi1ELi4EEEviiiPKT0_S4_PT_PKfS8_ii
		.amdhsa_group_segment_fixed_size 0
		.amdhsa_private_segment_fixed_size 64
		.amdhsa_kernarg_size 320
		.amdhsa_user_sgpr_count 15
		.amdhsa_user_sgpr_dispatch_ptr 0
		.amdhsa_user_sgpr_queue_ptr 0
		.amdhsa_user_sgpr_kernarg_segment_ptr 1
		.amdhsa_user_sgpr_dispatch_id 0
		.amdhsa_user_sgpr_private_segment_size 0
		.amdhsa_wavefront_size32 1
		.amdhsa_uses_dynamic_stack 0
		.amdhsa_enable_private_segment 1
		.amdhsa_system_sgpr_workgroup_id_x 1
		.amdhsa_system_sgpr_workgroup_id_y 0
		.amdhsa_system_sgpr_workgroup_id_z 0
		.amdhsa_system_sgpr_workgroup_info 0
		.amdhsa_system_vgpr_workitem_id 0
		.amdhsa_next_free_vgpr 50
		.amdhsa_next_free_sgpr 34
		.amdhsa_reserve_vcc 1
		.amdhsa_float_round_mode_32 0
		.amdhsa_float_round_mode_16_64 0
		.amdhsa_float_denorm_mode_32 3
		.amdhsa_float_denorm_mode_16_64 3
		.amdhsa_dx10_clamp 1
		.amdhsa_ieee_mode 1
		.amdhsa_fp16_overflow 0
		.amdhsa_workgroup_processor_mode 1
		.amdhsa_memory_ordered 1
		.amdhsa_forward_progress 0
		.amdhsa_shared_vgpr_count 0
		.amdhsa_exception_fp_ieee_invalid_op 0
		.amdhsa_exception_fp_denorm_src 0
		.amdhsa_exception_fp_ieee_div_zero 0
		.amdhsa_exception_fp_ieee_overflow 0
		.amdhsa_exception_fp_ieee_underflow 0
		.amdhsa_exception_fp_ieee_inexact 0
		.amdhsa_exception_int_div_zero 0
	.end_amdhsa_kernel
	.section	.text._ZN5aiter13wvSplitKQ_hf_I14__hip_bfloat16hLi64ELi7ELi16ELi16ELi1ELi4EEEviiiPKT0_S4_PT_PKfS8_ii,"axG",@progbits,_ZN5aiter13wvSplitKQ_hf_I14__hip_bfloat16hLi64ELi7ELi16ELi16ELi1ELi4EEEviiiPKT0_S4_PT_PKfS8_ii,comdat
.Lfunc_end83:
	.size	_ZN5aiter13wvSplitKQ_hf_I14__hip_bfloat16hLi64ELi7ELi16ELi16ELi1ELi4EEEviiiPKT0_S4_PT_PKfS8_ii, .Lfunc_end83-_ZN5aiter13wvSplitKQ_hf_I14__hip_bfloat16hLi64ELi7ELi16ELi16ELi1ELi4EEEviiiPKT0_S4_PT_PKfS8_ii
                                        ; -- End function
	.section	.AMDGPU.csdata,"",@progbits
; Kernel info:
; codeLenInByte = 76
; NumSgprs: 36
; NumVgprs: 50
; ScratchSize: 64
; MemoryBound: 0
; FloatMode: 240
; IeeeMode: 1
; LDSByteSize: 0 bytes/workgroup (compile time only)
; SGPRBlocks: 4
; VGPRBlocks: 6
; NumSGPRsForWavesPerEU: 36
; NumVGPRsForWavesPerEU: 50
; Occupancy: 16
; WaveLimiterHint : 1
; COMPUTE_PGM_RSRC2:SCRATCH_EN: 1
; COMPUTE_PGM_RSRC2:USER_SGPR: 15
; COMPUTE_PGM_RSRC2:TRAP_HANDLER: 0
; COMPUTE_PGM_RSRC2:TGID_X_EN: 1
; COMPUTE_PGM_RSRC2:TGID_Y_EN: 0
; COMPUTE_PGM_RSRC2:TGID_Z_EN: 0
; COMPUTE_PGM_RSRC2:TIDIG_COMP_CNT: 0
	.section	.text._ZN5aiter14HGEMV_WFPerRowILi64ELi512ELi4ELi8EEEviiPKDF16_iS2_PDF16_,"axG",@progbits,_ZN5aiter14HGEMV_WFPerRowILi64ELi512ELi4ELi8EEEviiPKDF16_iS2_PDF16_,comdat
	.protected	_ZN5aiter14HGEMV_WFPerRowILi64ELi512ELi4ELi8EEEviiPKDF16_iS2_PDF16_ ; -- Begin function _ZN5aiter14HGEMV_WFPerRowILi64ELi512ELi4ELi8EEEviiPKDF16_iS2_PDF16_
	.globl	_ZN5aiter14HGEMV_WFPerRowILi64ELi512ELi4ELi8EEEviiPKDF16_iS2_PDF16_
	.p2align	8
	.type	_ZN5aiter14HGEMV_WFPerRowILi64ELi512ELi4ELi8EEEviiPKDF16_iS2_PDF16_,@function
_ZN5aiter14HGEMV_WFPerRowILi64ELi512ELi4ELi8EEEviiPKDF16_iS2_PDF16_: ; @_ZN5aiter14HGEMV_WFPerRowILi64ELi512ELi4ELi8EEEviiPKDF16_iS2_PDF16_
; %bb.0:
	s_load_b64 s[2:3], s[0:1], 0x0
	v_bfe_u32 v1, v0, 10, 10
	s_mov_b32 s4, exec_lo
	s_delay_alu instid0(VALU_DEP_1) | instskip(NEXT) | instid1(VALU_DEP_1)
	v_lshlrev_b32_e32 v1, 2, v1
	v_lshl_add_u32 v1, s15, 5, v1
	s_waitcnt lgkmcnt(0)
	s_delay_alu instid0(VALU_DEP_1)
	v_cmpx_gt_i32_e64 s2, v1
	s_cbranch_execz .LBB84_9
; %bb.1:
	v_mbcnt_lo_u32_b32 v2, -1, 0
	s_clause 0x2
	s_load_b32 s11, s[0:1], 0x28
	s_load_b64 s[8:9], s[0:1], 0x8
	s_load_b128 s[4:7], s[0:1], 0x18
	v_and_b32_e32 v0, 0x3ff, v0
	v_mul_lo_u32 v13, s3, v1
	v_cmp_gt_u32_e64 s1, 32, v2
	v_lshlrev_b32_e32 v3, 2, v2
	s_delay_alu instid0(VALU_DEP_4) | instskip(SKIP_1) | instid1(VALU_DEP_4)
	v_cmp_gt_i32_e32 vcc_lo, s3, v0
	v_cmp_eq_u32_e64 s0, 0, v0
	v_cndmask_b32_e64 v4, 0, 1, s1
	v_cmp_gt_u32_e64 s1, 48, v2
	v_add_nc_u32_e32 v16, s3, v13
	s_delay_alu instid0(VALU_DEP_3) | instskip(NEXT) | instid1(VALU_DEP_3)
	v_lshl_or_b32 v7, v4, 7, v3
	v_cndmask_b32_e64 v5, 0, 1, s1
	v_cmp_gt_u32_e64 s1, 56, v2
	s_delay_alu instid0(VALU_DEP_2) | instskip(NEXT) | instid1(VALU_DEP_2)
	v_lshlrev_b32_e32 v3, 4, v5
	v_cndmask_b32_e64 v6, 0, 1, s1
	v_cmp_gt_u32_e64 s1, 60, v2
	s_waitcnt lgkmcnt(0)
	s_lshl_b32 s10, s11, 5
	s_mul_i32 s11, s11, s3
	v_lshlrev_b32_e32 v4, 3, v6
	v_cndmask_b32_e64 v8, 0, 1, s1
	v_cmp_gt_u32_e64 s1, 62, v2
	s_delay_alu instid0(VALU_DEP_2) | instskip(NEXT) | instid1(VALU_DEP_2)
	v_lshlrev_b32_e32 v5, 2, v8
	v_cndmask_b32_e64 v9, 0, 1, s1
	v_cmp_ne_u32_e64 s1, 63, v2
	v_add_lshl_u32 v8, v3, v2, 2
	v_add_nc_u32_e32 v3, 2, v1
	v_add_lshl_u32 v10, v5, v2, 2
	v_lshlrev_b32_e32 v6, 1, v9
	v_add_co_ci_u32_e64 v12, s1, 0, v2, s1
	v_add_lshl_u32 v9, v4, v2, 2
	v_add_nc_u32_e32 v4, 3, v1
	s_delay_alu instid0(VALU_DEP_4) | instskip(SKIP_4) | instid1(VALU_DEP_4)
	v_add_lshl_u32 v11, v6, v2, 2
	v_lshlrev_b32_e32 v2, 1, v0
	v_mul_lo_u32 v14, s3, v3
	v_lshlrev_b32_e32 v12, 2, v12
	v_mul_lo_u32 v15, s3, v4
	v_add_co_u32 v2, s1, v2, s4
	s_delay_alu instid0(VALU_DEP_1) | instskip(SKIP_1) | instid1(VALU_DEP_2)
	v_add_co_ci_u32_e64 v5, null, 0, s5, s1
	s_mov_b32 s4, 0
	v_add_co_u32 v3, s1, 0x380, v2
	s_delay_alu instid0(VALU_DEP_1)
	v_add_co_ci_u32_e64 v4, s1, 0, v5, s1
	s_lshl_b32 s5, s11, 5
	s_branch .LBB84_3
.LBB84_2:                               ;   in Loop: Header=BB84_3 Depth=1
	s_or_b32 exec_lo, exec_lo, s11
	v_add_nc_u32_e32 v1, s10, v1
	v_add_nc_u32_e32 v13, s5, v13
	;; [unrolled: 1-line block ×5, first 2 shown]
	v_cmp_le_i32_e64 s1, s2, v1
	s_delay_alu instid0(VALU_DEP_1) | instskip(NEXT) | instid1(SALU_CYCLE_1)
	s_or_b32 s4, s1, s4
	s_and_not1_b32 exec_lo, exec_lo, s4
	s_cbranch_execz .LBB84_9
.LBB84_3:                               ; =>This Loop Header: Depth=1
                                        ;     Child Loop BB84_5 Depth 2
	s_waitcnt lgkmcnt(1)
	v_dual_mov_b32 v18, 0 :: v_dual_mov_b32 v17, 0
	v_dual_mov_b32 v21, 0 :: v_dual_mov_b32 v22, 0
	s_waitcnt lgkmcnt(0)
	v_dual_mov_b32 v19, 0 :: v_dual_mov_b32 v20, 0
	v_dual_mov_b32 v23, 0 :: v_dual_mov_b32 v2, 0
	s_and_saveexec_b32 s11, vcc_lo
	s_cbranch_execz .LBB84_7
; %bb.4:                                ;   in Loop: Header=BB84_3 Depth=1
	v_dual_mov_b32 v6, v4 :: v_dual_mov_b32 v23, 0
	v_dual_mov_b32 v2, 0 :: v_dual_mov_b32 v5, v3
	;; [unrolled: 1-line block ×5, first 2 shown]
	v_mov_b32_e32 v18, 0
	s_mov_b32 s12, 0
.LBB84_5:                               ;   Parent Loop BB84_3 Depth=1
                                        ; =>  This Inner Loop Header: Depth=2
	v_add_nc_u32_e32 v25, v13, v24
	v_add_nc_u32_e32 v27, v16, v24
	;; [unrolled: 1-line block ×4, first 2 shown]
	s_clause 0x7
	global_load_u16 v33, v[5:6], off offset:-896
	global_load_u16 v34, v[5:6], off offset:-768
	;; [unrolled: 1-line block ×7, first 2 shown]
	global_load_u16 v40, v[5:6], off
	v_ashrrev_i32_e32 v26, 31, v25
	v_ashrrev_i32_e32 v28, 31, v27
	;; [unrolled: 1-line block ×4, first 2 shown]
	v_add_nc_u32_e32 v24, 0x200, v24
	v_lshlrev_b64 v[25:26], 1, v[25:26]
	v_lshlrev_b64 v[27:28], 1, v[27:28]
	;; [unrolled: 1-line block ×4, first 2 shown]
	s_delay_alu instid0(VALU_DEP_4) | instskip(NEXT) | instid1(VALU_DEP_1)
	v_add_co_u32 v25, s1, s8, v25
	v_add_co_ci_u32_e64 v26, s1, s9, v26, s1
	v_add_co_u32 v27, s1, s8, v27
	s_delay_alu instid0(VALU_DEP_1) | instskip(SKIP_1) | instid1(VALU_DEP_1)
	v_add_co_ci_u32_e64 v28, s1, s9, v28, s1
	v_add_co_u32 v29, s1, s8, v29
	v_add_co_ci_u32_e64 v30, s1, s9, v30, s1
	v_add_co_u32 v31, s1, s8, v31
	s_delay_alu instid0(VALU_DEP_1)
	v_add_co_ci_u32_e64 v32, s1, s9, v32, s1
	s_clause 0x1f
	global_load_u16 v41, v[25:26], off offset:128
	global_load_u16 v42, v[25:26], off
	global_load_u16 v43, v[27:28], off offset:128
	global_load_u16 v44, v[27:28], off
	;; [unrolled: 2-line block ×4, first 2 shown]
	global_load_u16 v49, v[25:26], off offset:256
	global_load_u16 v50, v[25:26], off offset:384
	;; [unrolled: 1-line block ×24, first 2 shown]
	v_add_co_u32 v5, s1, 0x400, v5
	s_delay_alu instid0(VALU_DEP_1) | instskip(SKIP_1) | instid1(VALU_DEP_1)
	v_add_co_ci_u32_e64 v6, s1, 0, v6, s1
	v_cmp_le_i32_e64 s1, s3, v24
	s_or_b32 s12, s1, s12
	s_waitcnt vmcnt(31)
	v_fma_mix_f32 v23, v34, v41, v23 op_sel_hi:[1,1,0]
	s_waitcnt vmcnt(30)
	v_fma_mix_f32 v2, v33, v42, v2 op_sel_hi:[1,1,0]
	;; [unrolled: 2-line block ×32, first 2 shown]
	s_and_not1_b32 exec_lo, exec_lo, s12
	s_cbranch_execnz .LBB84_5
; %bb.6:                                ;   in Loop: Header=BB84_3 Depth=1
	s_or_b32 exec_lo, exec_lo, s12
.LBB84_7:                               ;   in Loop: Header=BB84_3 Depth=1
	s_delay_alu instid0(SALU_CYCLE_1) | instskip(NEXT) | instid1(VALU_DEP_1)
	s_or_b32 exec_lo, exec_lo, s11
	v_dual_add_f32 v2, v2, v23 :: v_dual_add_f32 v5, v20, v22
	v_dual_add_f32 v6, v19, v21 :: v_dual_add_f32 v17, v17, v18
	ds_bpermute_b32 v18, v7, v2
	ds_bpermute_b32 v19, v7, v5
	ds_bpermute_b32 v20, v7, v6
	ds_bpermute_b32 v21, v7, v17
	s_waitcnt lgkmcnt(2)
	v_dual_add_f32 v2, v2, v18 :: v_dual_add_f32 v5, v5, v19
	s_waitcnt lgkmcnt(0)
	v_dual_add_f32 v6, v6, v20 :: v_dual_add_f32 v17, v17, v21
	ds_bpermute_b32 v18, v8, v2
	ds_bpermute_b32 v19, v8, v5
	ds_bpermute_b32 v20, v8, v6
	ds_bpermute_b32 v21, v8, v17
	s_waitcnt lgkmcnt(2)
	v_dual_add_f32 v2, v2, v18 :: v_dual_add_f32 v5, v5, v19
	s_waitcnt lgkmcnt(0)
	;; [unrolled: 8-line block ×5, first 2 shown]
	v_add_f32_e32 v5, v18, v20
	s_waitcnt lgkmcnt(0)
	v_add_f32_e32 v17, v17, v21
	ds_bpermute_b32 v21, v12, v6
	ds_bpermute_b32 v22, v12, v19
	;; [unrolled: 1-line block ×4, first 2 shown]
	s_and_saveexec_b32 s11, s0
	s_cbranch_execz .LBB84_2
; %bb.8:                                ;   in Loop: Header=BB84_3 Depth=1
	v_ashrrev_i32_e32 v2, 31, v1
	s_waitcnt lgkmcnt(2)
	v_add_f32_e32 v19, v19, v22
	s_waitcnt lgkmcnt(1)
	v_dual_add_f32 v21, v6, v21 :: v_dual_add_f32 v18, v5, v18
	s_waitcnt lgkmcnt(0)
	v_add_f32_e32 v17, v17, v20
	v_lshlrev_b64 v[5:6], 1, v[1:2]
	v_cvt_f16_f32_e32 v2, v19
	v_cvt_f16_f32_e32 v19, v21
	;; [unrolled: 1-line block ×4, first 2 shown]
	v_add_co_u32 v5, s1, s6, v5
	s_delay_alu instid0(VALU_DEP_1) | instskip(NEXT) | instid1(VALU_DEP_3)
	v_add_co_ci_u32_e64 v6, s1, s7, v6, s1
	v_pack_b32_f16 v18, v18, v17
	v_pack_b32_f16 v17, v19, v2
	global_store_b64 v[5:6], v[17:18], off
	s_branch .LBB84_2
.LBB84_9:
	s_nop 0
	s_sendmsg sendmsg(MSG_DEALLOC_VGPRS)
	s_endpgm
	.section	.rodata,"a",@progbits
	.p2align	6, 0x0
	.amdhsa_kernel _ZN5aiter14HGEMV_WFPerRowILi64ELi512ELi4ELi8EEEviiPKDF16_iS2_PDF16_
		.amdhsa_group_segment_fixed_size 0
		.amdhsa_private_segment_fixed_size 0
		.amdhsa_kernarg_size 296
		.amdhsa_user_sgpr_count 15
		.amdhsa_user_sgpr_dispatch_ptr 0
		.amdhsa_user_sgpr_queue_ptr 0
		.amdhsa_user_sgpr_kernarg_segment_ptr 1
		.amdhsa_user_sgpr_dispatch_id 0
		.amdhsa_user_sgpr_private_segment_size 0
		.amdhsa_wavefront_size32 1
		.amdhsa_uses_dynamic_stack 0
		.amdhsa_enable_private_segment 0
		.amdhsa_system_sgpr_workgroup_id_x 1
		.amdhsa_system_sgpr_workgroup_id_y 0
		.amdhsa_system_sgpr_workgroup_id_z 0
		.amdhsa_system_sgpr_workgroup_info 0
		.amdhsa_system_vgpr_workitem_id 1
		.amdhsa_next_free_vgpr 66
		.amdhsa_next_free_sgpr 16
		.amdhsa_reserve_vcc 1
		.amdhsa_float_round_mode_32 0
		.amdhsa_float_round_mode_16_64 0
		.amdhsa_float_denorm_mode_32 3
		.amdhsa_float_denorm_mode_16_64 3
		.amdhsa_dx10_clamp 1
		.amdhsa_ieee_mode 1
		.amdhsa_fp16_overflow 0
		.amdhsa_workgroup_processor_mode 1
		.amdhsa_memory_ordered 1
		.amdhsa_forward_progress 0
		.amdhsa_shared_vgpr_count 0
		.amdhsa_exception_fp_ieee_invalid_op 0
		.amdhsa_exception_fp_denorm_src 0
		.amdhsa_exception_fp_ieee_div_zero 0
		.amdhsa_exception_fp_ieee_overflow 0
		.amdhsa_exception_fp_ieee_underflow 0
		.amdhsa_exception_fp_ieee_inexact 0
		.amdhsa_exception_int_div_zero 0
	.end_amdhsa_kernel
	.section	.text._ZN5aiter14HGEMV_WFPerRowILi64ELi512ELi4ELi8EEEviiPKDF16_iS2_PDF16_,"axG",@progbits,_ZN5aiter14HGEMV_WFPerRowILi64ELi512ELi4ELi8EEEviiPKDF16_iS2_PDF16_,comdat
.Lfunc_end84:
	.size	_ZN5aiter14HGEMV_WFPerRowILi64ELi512ELi4ELi8EEEviiPKDF16_iS2_PDF16_, .Lfunc_end84-_ZN5aiter14HGEMV_WFPerRowILi64ELi512ELi4ELi8EEEviiPKDF16_iS2_PDF16_
                                        ; -- End function
	.section	.AMDGPU.csdata,"",@progbits
; Kernel info:
; codeLenInByte = 1916
; NumSgprs: 18
; NumVgprs: 66
; ScratchSize: 0
; MemoryBound: 0
; FloatMode: 240
; IeeeMode: 1
; LDSByteSize: 0 bytes/workgroup (compile time only)
; SGPRBlocks: 2
; VGPRBlocks: 8
; NumSGPRsForWavesPerEU: 18
; NumVGPRsForWavesPerEU: 66
; Occupancy: 16
; WaveLimiterHint : 1
; COMPUTE_PGM_RSRC2:SCRATCH_EN: 0
; COMPUTE_PGM_RSRC2:USER_SGPR: 15
; COMPUTE_PGM_RSRC2:TRAP_HANDLER: 0
; COMPUTE_PGM_RSRC2:TGID_X_EN: 1
; COMPUTE_PGM_RSRC2:TGID_Y_EN: 0
; COMPUTE_PGM_RSRC2:TGID_Z_EN: 0
; COMPUTE_PGM_RSRC2:TIDIG_COMP_CNT: 1
	.section	.text._ZN5aiter14HGEMV_WFPerRowILi64ELi512ELi2ELi8EEEviiPKDF16_iS2_PDF16_,"axG",@progbits,_ZN5aiter14HGEMV_WFPerRowILi64ELi512ELi2ELi8EEEviiPKDF16_iS2_PDF16_,comdat
	.protected	_ZN5aiter14HGEMV_WFPerRowILi64ELi512ELi2ELi8EEEviiPKDF16_iS2_PDF16_ ; -- Begin function _ZN5aiter14HGEMV_WFPerRowILi64ELi512ELi2ELi8EEEviiPKDF16_iS2_PDF16_
	.globl	_ZN5aiter14HGEMV_WFPerRowILi64ELi512ELi2ELi8EEEviiPKDF16_iS2_PDF16_
	.p2align	8
	.type	_ZN5aiter14HGEMV_WFPerRowILi64ELi512ELi2ELi8EEEviiPKDF16_iS2_PDF16_,@function
_ZN5aiter14HGEMV_WFPerRowILi64ELi512ELi2ELi8EEEviiPKDF16_iS2_PDF16_: ; @_ZN5aiter14HGEMV_WFPerRowILi64ELi512ELi2ELi8EEEviiPKDF16_iS2_PDF16_
; %bb.0:
	s_load_b64 s[2:3], s[0:1], 0x0
	v_bfe_u32 v1, v0, 10, 10
	s_mov_b32 s4, exec_lo
	s_delay_alu instid0(VALU_DEP_1) | instskip(NEXT) | instid1(VALU_DEP_1)
	v_lshlrev_b32_e32 v1, 1, v1
	v_lshl_add_u32 v1, s15, 4, v1
	s_waitcnt lgkmcnt(0)
	s_delay_alu instid0(VALU_DEP_1)
	v_cmpx_gt_i32_e64 s2, v1
	s_cbranch_execz .LBB85_9
; %bb.1:
	v_mbcnt_lo_u32_b32 v2, -1, 0
	s_clause 0x2
	s_load_b32 s11, s[0:1], 0x28
	s_load_b64 s[8:9], s[0:1], 0x8
	s_load_b128 s[4:7], s[0:1], 0x18
	v_and_b32_e32 v0, 0x3ff, v0
	v_mul_lo_u32 v12, s3, v1
	v_cmp_gt_u32_e64 s1, 32, v2
	v_lshlrev_b32_e32 v3, 2, v2
	s_delay_alu instid0(VALU_DEP_4) | instskip(SKIP_1) | instid1(VALU_DEP_4)
	v_cmp_gt_i32_e32 vcc_lo, s3, v0
	v_cmp_eq_u32_e64 s0, 0, v0
	v_cndmask_b32_e64 v4, 0, 1, s1
	v_cmp_gt_u32_e64 s1, 48, v2
	v_add_nc_u32_e32 v14, s3, v12
	s_delay_alu instid0(VALU_DEP_2) | instskip(SKIP_1) | instid1(VALU_DEP_2)
	v_cndmask_b32_e64 v5, 0, 1, s1
	v_cmp_gt_u32_e64 s1, 56, v2
	v_lshlrev_b32_e32 v5, 4, v5
	s_delay_alu instid0(VALU_DEP_2)
	v_cndmask_b32_e64 v6, 0, 1, s1
	v_cmp_gt_u32_e64 s1, 60, v2
	s_waitcnt lgkmcnt(0)
	s_lshl_b32 s10, s11, 4
	s_mul_i32 s11, s11, s3
	v_lshlrev_b32_e32 v6, 3, v6
	v_cndmask_b32_e64 v7, 0, 1, s1
	v_cmp_gt_u32_e64 s1, 62, v2
	s_delay_alu instid0(VALU_DEP_3) | instskip(NEXT) | instid1(VALU_DEP_3)
	v_add_lshl_u32 v9, v6, v2, 2
	v_lshlrev_b32_e32 v10, 2, v7
	s_delay_alu instid0(VALU_DEP_3)
	v_cndmask_b32_e64 v8, 0, 1, s1
	v_cmp_ne_u32_e64 s1, 63, v2
	v_lshl_or_b32 v7, v4, 7, v3
	v_lshlrev_b32_e32 v3, 1, v0
	v_add_lshl_u32 v10, v10, v2, 2
	v_lshlrev_b32_e32 v11, 1, v8
	v_add_lshl_u32 v8, v5, v2, 2
	s_delay_alu instid0(VALU_DEP_2) | instskip(SKIP_2) | instid1(VALU_DEP_1)
	v_add_lshl_u32 v11, v11, v2, 2
	v_add_co_ci_u32_e64 v2, s1, 0, v2, s1
	v_add_co_u32 v3, s1, v3, s4
	v_add_co_ci_u32_e64 v4, null, 0, s5, s1
	s_delay_alu instid0(VALU_DEP_3) | instskip(NEXT) | instid1(VALU_DEP_3)
	v_lshlrev_b32_e32 v13, 2, v2
	v_add_co_u32 v3, s1, 0x380, v3
	s_delay_alu instid0(VALU_DEP_1)
	v_add_co_ci_u32_e64 v4, s1, 0, v4, s1
	s_mov_b32 s4, 0
	s_lshl_b32 s5, s11, 4
	s_branch .LBB85_3
.LBB85_2:                               ;   in Loop: Header=BB85_3 Depth=1
	s_or_b32 exec_lo, exec_lo, s11
	v_add_nc_u32_e32 v1, s10, v1
	v_add_nc_u32_e32 v12, s5, v12
	;; [unrolled: 1-line block ×3, first 2 shown]
	s_delay_alu instid0(VALU_DEP_3) | instskip(NEXT) | instid1(VALU_DEP_1)
	v_cmp_le_i32_e64 s1, s2, v1
	s_or_b32 s4, s1, s4
	s_delay_alu instid0(SALU_CYCLE_1)
	s_and_not1_b32 exec_lo, exec_lo, s4
	s_cbranch_execz .LBB85_9
.LBB85_3:                               ; =>This Loop Header: Depth=1
                                        ;     Child Loop BB85_5 Depth 2
	s_waitcnt lgkmcnt(0)
	v_dual_mov_b32 v15, 0 :: v_dual_mov_b32 v16, 0
	v_dual_mov_b32 v17, 0 :: v_dual_mov_b32 v2, 0
	s_and_saveexec_b32 s11, vcc_lo
	s_cbranch_execz .LBB85_7
; %bb.4:                                ;   in Loop: Header=BB85_3 Depth=1
	v_dual_mov_b32 v6, v4 :: v_dual_mov_b32 v17, 0
	v_dual_mov_b32 v2, 0 :: v_dual_mov_b32 v5, v3
	;; [unrolled: 1-line block ×3, first 2 shown]
	v_mov_b32_e32 v16, 0
	s_mov_b32 s12, 0
.LBB85_5:                               ;   Parent Loop BB85_3 Depth=1
                                        ; =>  This Inner Loop Header: Depth=2
	s_delay_alu instid0(VALU_DEP_2)
	v_add_nc_u32_e32 v19, v12, v18
	v_add_nc_u32_e32 v21, v14, v18
	s_clause 0x5
	global_load_u16 v23, v[5:6], off offset:-896
	global_load_u16 v24, v[5:6], off offset:-768
	;; [unrolled: 1-line block ×6, first 2 shown]
	v_add_nc_u32_e32 v18, 0x200, v18
	v_ashrrev_i32_e32 v20, 31, v19
	v_ashrrev_i32_e32 v22, 31, v21
	s_delay_alu instid0(VALU_DEP_2) | instskip(NEXT) | instid1(VALU_DEP_2)
	v_lshlrev_b64 v[19:20], 1, v[19:20]
	v_lshlrev_b64 v[21:22], 1, v[21:22]
	s_delay_alu instid0(VALU_DEP_2) | instskip(NEXT) | instid1(VALU_DEP_1)
	v_add_co_u32 v19, s1, s8, v19
	v_add_co_ci_u32_e64 v20, s1, s9, v20, s1
	s_delay_alu instid0(VALU_DEP_3) | instskip(NEXT) | instid1(VALU_DEP_1)
	v_add_co_u32 v21, s1, s8, v21
	v_add_co_ci_u32_e64 v22, s1, s9, v22, s1
	s_clause 0x7
	global_load_u16 v29, v[19:20], off
	global_load_u16 v30, v[19:20], off offset:128
	global_load_u16 v31, v[21:22], off
	global_load_u16 v32, v[21:22], off offset:128
	global_load_u16 v33, v[19:20], off offset:256
	;; [unrolled: 1-line block ×5, first 2 shown]
	global_load_u16 v37, v[5:6], off offset:-128
	s_clause 0x3
	global_load_u16 v38, v[19:20], off offset:512
	global_load_u16 v39, v[19:20], off offset:640
	;; [unrolled: 1-line block ×4, first 2 shown]
	global_load_u16 v42, v[5:6], off
	s_clause 0x3
	global_load_u16 v43, v[19:20], off offset:768
	global_load_u16 v19, v[19:20], off offset:896
	;; [unrolled: 1-line block ×4, first 2 shown]
	v_add_co_u32 v5, s1, 0x400, v5
	s_delay_alu instid0(VALU_DEP_1) | instskip(SKIP_1) | instid1(VALU_DEP_1)
	v_add_co_ci_u32_e64 v6, s1, 0, v6, s1
	v_cmp_le_i32_e64 s1, s3, v18
	s_or_b32 s12, s1, s12
	s_waitcnt vmcnt(17)
	v_fma_mix_f32 v2, v23, v29, v2 op_sel_hi:[1,1,0]
	s_waitcnt vmcnt(16)
	v_fma_mix_f32 v17, v24, v30, v17 op_sel_hi:[1,1,0]
	;; [unrolled: 2-line block ×16, first 2 shown]
	s_and_not1_b32 exec_lo, exec_lo, s12
	s_cbranch_execnz .LBB85_5
; %bb.6:                                ;   in Loop: Header=BB85_3 Depth=1
	s_or_b32 exec_lo, exec_lo, s12
.LBB85_7:                               ;   in Loop: Header=BB85_3 Depth=1
	s_delay_alu instid0(SALU_CYCLE_1) | instskip(NEXT) | instid1(VALU_DEP_1)
	s_or_b32 exec_lo, exec_lo, s11
	v_dual_add_f32 v2, v2, v17 :: v_dual_add_f32 v5, v16, v15
	ds_bpermute_b32 v6, v7, v2
	ds_bpermute_b32 v15, v7, v5
	s_waitcnt lgkmcnt(0)
	v_dual_add_f32 v2, v2, v6 :: v_dual_add_f32 v5, v5, v15
	ds_bpermute_b32 v6, v8, v2
	ds_bpermute_b32 v15, v8, v5
	s_waitcnt lgkmcnt(0)
	;; [unrolled: 4-line block ×4, first 2 shown]
	v_add_f32_e32 v2, v2, v6
	s_waitcnt lgkmcnt(0)
	v_add_f32_e32 v6, v5, v15
	ds_bpermute_b32 v5, v11, v2
	s_waitcnt lgkmcnt(0)
	v_add_f32_e32 v5, v2, v5
	ds_bpermute_b32 v15, v11, v6
	;; [unrolled: 3-line block ×3, first 2 shown]
	ds_bpermute_b32 v16, v13, v15
	s_and_saveexec_b32 s11, s0
	s_cbranch_execz .LBB85_2
; %bb.8:                                ;   in Loop: Header=BB85_3 Depth=1
	v_ashrrev_i32_e32 v2, 31, v1
	s_waitcnt lgkmcnt(0)
	v_dual_add_f32 v15, v15, v16 :: v_dual_add_f32 v16, v5, v6
	s_delay_alu instid0(VALU_DEP_2) | instskip(NEXT) | instid1(VALU_DEP_2)
	v_lshlrev_b64 v[5:6], 1, v[1:2]
	v_cvt_f16_f32_e32 v2, v15
	s_delay_alu instid0(VALU_DEP_3) | instskip(NEXT) | instid1(VALU_DEP_3)
	v_cvt_f16_f32_e32 v15, v16
	v_add_co_u32 v5, s1, s6, v5
	s_delay_alu instid0(VALU_DEP_1) | instskip(NEXT) | instid1(VALU_DEP_3)
	v_add_co_ci_u32_e64 v6, s1, s7, v6, s1
	v_pack_b32_f16 v2, v15, v2
	global_store_b32 v[5:6], v2, off
	s_branch .LBB85_2
.LBB85_9:
	s_nop 0
	s_sendmsg sendmsg(MSG_DEALLOC_VGPRS)
	s_endpgm
	.section	.rodata,"a",@progbits
	.p2align	6, 0x0
	.amdhsa_kernel _ZN5aiter14HGEMV_WFPerRowILi64ELi512ELi2ELi8EEEviiPKDF16_iS2_PDF16_
		.amdhsa_group_segment_fixed_size 0
		.amdhsa_private_segment_fixed_size 0
		.amdhsa_kernarg_size 296
		.amdhsa_user_sgpr_count 15
		.amdhsa_user_sgpr_dispatch_ptr 0
		.amdhsa_user_sgpr_queue_ptr 0
		.amdhsa_user_sgpr_kernarg_segment_ptr 1
		.amdhsa_user_sgpr_dispatch_id 0
		.amdhsa_user_sgpr_private_segment_size 0
		.amdhsa_wavefront_size32 1
		.amdhsa_uses_dynamic_stack 0
		.amdhsa_enable_private_segment 0
		.amdhsa_system_sgpr_workgroup_id_x 1
		.amdhsa_system_sgpr_workgroup_id_y 0
		.amdhsa_system_sgpr_workgroup_id_z 0
		.amdhsa_system_sgpr_workgroup_info 0
		.amdhsa_system_vgpr_workitem_id 1
		.amdhsa_next_free_vgpr 44
		.amdhsa_next_free_sgpr 16
		.amdhsa_reserve_vcc 1
		.amdhsa_float_round_mode_32 0
		.amdhsa_float_round_mode_16_64 0
		.amdhsa_float_denorm_mode_32 3
		.amdhsa_float_denorm_mode_16_64 3
		.amdhsa_dx10_clamp 1
		.amdhsa_ieee_mode 1
		.amdhsa_fp16_overflow 0
		.amdhsa_workgroup_processor_mode 1
		.amdhsa_memory_ordered 1
		.amdhsa_forward_progress 0
		.amdhsa_shared_vgpr_count 0
		.amdhsa_exception_fp_ieee_invalid_op 0
		.amdhsa_exception_fp_denorm_src 0
		.amdhsa_exception_fp_ieee_div_zero 0
		.amdhsa_exception_fp_ieee_overflow 0
		.amdhsa_exception_fp_ieee_underflow 0
		.amdhsa_exception_fp_ieee_inexact 0
		.amdhsa_exception_int_div_zero 0
	.end_amdhsa_kernel
	.section	.text._ZN5aiter14HGEMV_WFPerRowILi64ELi512ELi2ELi8EEEviiPKDF16_iS2_PDF16_,"axG",@progbits,_ZN5aiter14HGEMV_WFPerRowILi64ELi512ELi2ELi8EEEviiPKDF16_iS2_PDF16_,comdat
.Lfunc_end85:
	.size	_ZN5aiter14HGEMV_WFPerRowILi64ELi512ELi2ELi8EEEviiPKDF16_iS2_PDF16_, .Lfunc_end85-_ZN5aiter14HGEMV_WFPerRowILi64ELi512ELi2ELi8EEEviiPKDF16_iS2_PDF16_
                                        ; -- End function
	.section	.AMDGPU.csdata,"",@progbits
; Kernel info:
; codeLenInByte = 1300
; NumSgprs: 18
; NumVgprs: 44
; ScratchSize: 0
; MemoryBound: 0
; FloatMode: 240
; IeeeMode: 1
; LDSByteSize: 0 bytes/workgroup (compile time only)
; SGPRBlocks: 2
; VGPRBlocks: 5
; NumSGPRsForWavesPerEU: 18
; NumVGPRsForWavesPerEU: 44
; Occupancy: 16
; WaveLimiterHint : 1
; COMPUTE_PGM_RSRC2:SCRATCH_EN: 0
; COMPUTE_PGM_RSRC2:USER_SGPR: 15
; COMPUTE_PGM_RSRC2:TRAP_HANDLER: 0
; COMPUTE_PGM_RSRC2:TGID_X_EN: 1
; COMPUTE_PGM_RSRC2:TGID_Y_EN: 0
; COMPUTE_PGM_RSRC2:TGID_Z_EN: 0
; COMPUTE_PGM_RSRC2:TIDIG_COMP_CNT: 1
	.section	.text._ZN5aiter14HGEMV_WFPerRowILi64ELi512ELi1ELi8EEEviiPKDF16_iS2_PDF16_,"axG",@progbits,_ZN5aiter14HGEMV_WFPerRowILi64ELi512ELi1ELi8EEEviiPKDF16_iS2_PDF16_,comdat
	.protected	_ZN5aiter14HGEMV_WFPerRowILi64ELi512ELi1ELi8EEEviiPKDF16_iS2_PDF16_ ; -- Begin function _ZN5aiter14HGEMV_WFPerRowILi64ELi512ELi1ELi8EEEviiPKDF16_iS2_PDF16_
	.globl	_ZN5aiter14HGEMV_WFPerRowILi64ELi512ELi1ELi8EEEviiPKDF16_iS2_PDF16_
	.p2align	8
	.type	_ZN5aiter14HGEMV_WFPerRowILi64ELi512ELi1ELi8EEEviiPKDF16_iS2_PDF16_,@function
_ZN5aiter14HGEMV_WFPerRowILi64ELi512ELi1ELi8EEEviiPKDF16_iS2_PDF16_: ; @_ZN5aiter14HGEMV_WFPerRowILi64ELi512ELi1ELi8EEEviiPKDF16_iS2_PDF16_
; %bb.0:
	s_load_b64 s[8:9], s[0:1], 0x0
	v_bfe_u32 v1, v0, 10, 10
	s_mov_b32 s2, exec_lo
	s_delay_alu instid0(VALU_DEP_1) | instskip(SKIP_1) | instid1(VALU_DEP_1)
	v_lshl_add_u32 v1, s15, 3, v1
	s_waitcnt lgkmcnt(0)
	v_cmpx_gt_i32_e64 s8, v1
	s_cbranch_execz .LBB86_9
; %bb.1:
	v_mbcnt_lo_u32_b32 v2, -1, 0
	s_clause 0x2
	s_load_b32 s2, s[0:1], 0x28
	s_load_b64 s[10:11], s[0:1], 0x8
	s_load_b128 s[4:7], s[0:1], 0x18
	v_and_b32_e32 v0, 0x3ff, v0
	v_mul_lo_u32 v13, s9, v1
	v_cmp_gt_u32_e64 s1, 32, v2
	v_lshlrev_b32_e32 v3, 2, v2
	s_delay_alu instid0(VALU_DEP_4) | instskip(SKIP_1) | instid1(VALU_DEP_4)
	v_cmp_gt_i32_e32 vcc_lo, s9, v0
	v_cmp_eq_u32_e64 s0, 0, v0
	v_cndmask_b32_e64 v4, 0, 1, s1
	v_cmp_gt_u32_e64 s1, 48, v2
	s_delay_alu instid0(VALU_DEP_2) | instskip(NEXT) | instid1(VALU_DEP_2)
	v_lshl_or_b32 v7, v4, 7, v3
	v_cndmask_b32_e64 v5, 0, 1, s1
	v_cmp_gt_u32_e64 s1, 56, v2
	s_delay_alu instid0(VALU_DEP_2) | instskip(NEXT) | instid1(VALU_DEP_2)
	v_lshlrev_b32_e32 v5, 4, v5
	v_cndmask_b32_e64 v6, 0, 1, s1
	v_cmp_gt_u32_e64 s1, 60, v2
	s_waitcnt lgkmcnt(0)
	s_lshl_b32 s3, s2, 3
	s_mul_i32 s2, s2, s9
	v_add_lshl_u32 v8, v5, v2, 2
	v_lshlrev_b32_e32 v3, 3, v6
	v_cndmask_b32_e64 v9, 0, 1, s1
	v_cmp_gt_u32_e64 s1, 62, v2
	s_delay_alu instid0(VALU_DEP_2) | instskip(NEXT) | instid1(VALU_DEP_2)
	v_lshlrev_b32_e32 v4, 2, v9
	v_cndmask_b32_e64 v10, 0, 1, s1
	v_cmp_ne_u32_e64 s1, 63, v2
	v_add_lshl_u32 v9, v3, v2, 2
	v_lshlrev_b32_e32 v3, 1, v0
	s_delay_alu instid0(VALU_DEP_4) | instskip(NEXT) | instid1(VALU_DEP_4)
	v_lshlrev_b32_e32 v5, 1, v10
	v_add_co_ci_u32_e64 v6, s1, 0, v2, s1
	v_add_lshl_u32 v10, v4, v2, 2
	s_delay_alu instid0(VALU_DEP_3) | instskip(SKIP_1) | instid1(VALU_DEP_1)
	v_add_lshl_u32 v11, v5, v2, 2
	v_add_co_u32 v2, s1, v3, s4
	v_add_co_ci_u32_e64 v4, null, 0, s5, s1
	v_lshlrev_b32_e32 v12, 2, v6
	s_delay_alu instid0(VALU_DEP_3) | instskip(NEXT) | instid1(VALU_DEP_1)
	v_add_co_u32 v3, s1, 0x380, v2
	v_add_co_ci_u32_e64 v4, s1, 0, v4, s1
	s_mov_b32 s4, 0
	s_lshl_b32 s5, s2, 3
	s_branch .LBB86_3
.LBB86_2:                               ;   in Loop: Header=BB86_3 Depth=1
	s_or_b32 exec_lo, exec_lo, s2
	v_add_nc_u32_e32 v1, s3, v1
	v_add_nc_u32_e32 v13, s5, v13
	s_delay_alu instid0(VALU_DEP_2) | instskip(NEXT) | instid1(VALU_DEP_1)
	v_cmp_le_i32_e64 s1, s8, v1
	s_or_b32 s4, s1, s4
	s_delay_alu instid0(SALU_CYCLE_1)
	s_and_not1_b32 exec_lo, exec_lo, s4
	s_cbranch_execz .LBB86_9
.LBB86_3:                               ; =>This Loop Header: Depth=1
                                        ;     Child Loop BB86_5 Depth 2
	v_mov_b32_e32 v14, 0
	v_mov_b32_e32 v2, 0
	s_and_saveexec_b32 s12, vcc_lo
	s_cbranch_execz .LBB86_7
; %bb.4:                                ;   in Loop: Header=BB86_3 Depth=1
	s_waitcnt lgkmcnt(0)
	v_mov_b32_e32 v6, v4
	v_dual_mov_b32 v2, 0 :: v_dual_mov_b32 v5, v3
	v_dual_mov_b32 v15, v0 :: v_dual_mov_b32 v14, 0
	s_mov_b32 s13, 0
.LBB86_5:                               ;   Parent Loop BB86_3 Depth=1
                                        ; =>  This Inner Loop Header: Depth=2
	s_delay_alu instid0(VALU_DEP_1) | instskip(SKIP_1) | instid1(VALU_DEP_2)
	v_add_nc_u32_e32 v16, v13, v15
	v_add_nc_u32_e32 v15, 0x200, v15
	v_ashrrev_i32_e32 v17, 31, v16
	s_delay_alu instid0(VALU_DEP_2) | instskip(NEXT) | instid1(VALU_DEP_2)
	v_cmp_le_i32_e64 s2, s9, v15
	v_lshlrev_b64 v[16:17], 1, v[16:17]
	s_delay_alu instid0(VALU_DEP_2) | instskip(NEXT) | instid1(VALU_DEP_1)
	s_or_b32 s13, s2, s13
	v_add_co_u32 v16, s1, s10, v16
	s_delay_alu instid0(VALU_DEP_1)
	v_add_co_ci_u32_e64 v17, s1, s11, v17, s1
	s_clause 0x1
	global_load_u16 v18, v[5:6], off offset:-896
	global_load_u16 v19, v[5:6], off offset:-768
	s_clause 0x1
	global_load_u16 v20, v[16:17], off
	global_load_u16 v21, v[16:17], off offset:128
	s_clause 0x1
	global_load_u16 v22, v[5:6], off offset:-640
	global_load_u16 v23, v[5:6], off offset:-512
	s_clause 0x1
	global_load_u16 v24, v[16:17], off offset:256
	global_load_u16 v25, v[16:17], off offset:384
	s_clause 0x1
	global_load_u16 v26, v[5:6], off offset:-384
	global_load_u16 v27, v[5:6], off offset:-256
	s_clause 0x1
	global_load_u16 v28, v[16:17], off offset:512
	global_load_u16 v29, v[16:17], off offset:640
	s_clause 0x1
	global_load_u16 v30, v[5:6], off offset:-128
	global_load_u16 v31, v[5:6], off
	s_clause 0x1
	global_load_u16 v32, v[16:17], off offset:768
	global_load_u16 v16, v[16:17], off offset:896
	v_add_co_u32 v5, s1, 0x400, v5
	s_delay_alu instid0(VALU_DEP_1)
	v_add_co_ci_u32_e64 v6, s1, 0, v6, s1
	s_waitcnt vmcnt(13)
	v_fma_mix_f32 v2, v18, v20, v2 op_sel_hi:[1,1,0]
	s_waitcnt vmcnt(12)
	v_fma_mix_f32 v14, v19, v21, v14 op_sel_hi:[1,1,0]
	s_waitcnt vmcnt(9)
	s_delay_alu instid0(VALU_DEP_2) | instskip(SKIP_1) | instid1(VALU_DEP_2)
	v_fma_mix_f32 v2, v22, v24, v2 op_sel_hi:[1,1,0]
	s_waitcnt vmcnt(8)
	v_fma_mix_f32 v14, v23, v25, v14 op_sel_hi:[1,1,0]
	s_waitcnt vmcnt(5)
	s_delay_alu instid0(VALU_DEP_2) | instskip(SKIP_1) | instid1(VALU_DEP_2)
	;; [unrolled: 5-line block ×3, first 2 shown]
	v_fma_mix_f32 v2, v30, v32, v2 op_sel_hi:[1,1,0]
	s_waitcnt vmcnt(0)
	v_fma_mix_f32 v14, v31, v16, v14 op_sel_hi:[1,1,0]
	s_and_not1_b32 exec_lo, exec_lo, s13
	s_cbranch_execnz .LBB86_5
; %bb.6:                                ;   in Loop: Header=BB86_3 Depth=1
	s_or_b32 exec_lo, exec_lo, s13
.LBB86_7:                               ;   in Loop: Header=BB86_3 Depth=1
	s_delay_alu instid0(SALU_CYCLE_1) | instskip(NEXT) | instid1(VALU_DEP_1)
	s_or_b32 exec_lo, exec_lo, s12
	v_add_f32_e32 v2, v2, v14
	ds_bpermute_b32 v5, v7, v2
	s_waitcnt lgkmcnt(0)
	v_add_f32_e32 v2, v2, v5
	ds_bpermute_b32 v5, v8, v2
	s_waitcnt lgkmcnt(0)
	;; [unrolled: 3-line block ×5, first 2 shown]
	v_add_f32_e32 v5, v2, v5
	ds_bpermute_b32 v6, v12, v5
	s_and_saveexec_b32 s2, s0
	s_cbranch_execz .LBB86_2
; %bb.8:                                ;   in Loop: Header=BB86_3 Depth=1
	v_ashrrev_i32_e32 v2, 31, v1
	s_delay_alu instid0(VALU_DEP_1) | instskip(SKIP_2) | instid1(VALU_DEP_1)
	v_lshlrev_b64 v[14:15], 1, v[1:2]
	s_waitcnt lgkmcnt(0)
	v_add_f32_e32 v2, v5, v6
	v_cvt_f16_f32_e32 v2, v2
	s_delay_alu instid0(VALU_DEP_3) | instskip(NEXT) | instid1(VALU_DEP_1)
	v_add_co_u32 v5, s1, s6, v14
	v_add_co_ci_u32_e64 v6, s1, s7, v15, s1
	global_store_b16 v[5:6], v2, off
	s_branch .LBB86_2
.LBB86_9:
	s_nop 0
	s_sendmsg sendmsg(MSG_DEALLOC_VGPRS)
	s_endpgm
	.section	.rodata,"a",@progbits
	.p2align	6, 0x0
	.amdhsa_kernel _ZN5aiter14HGEMV_WFPerRowILi64ELi512ELi1ELi8EEEviiPKDF16_iS2_PDF16_
		.amdhsa_group_segment_fixed_size 0
		.amdhsa_private_segment_fixed_size 0
		.amdhsa_kernarg_size 296
		.amdhsa_user_sgpr_count 15
		.amdhsa_user_sgpr_dispatch_ptr 0
		.amdhsa_user_sgpr_queue_ptr 0
		.amdhsa_user_sgpr_kernarg_segment_ptr 1
		.amdhsa_user_sgpr_dispatch_id 0
		.amdhsa_user_sgpr_private_segment_size 0
		.amdhsa_wavefront_size32 1
		.amdhsa_uses_dynamic_stack 0
		.amdhsa_enable_private_segment 0
		.amdhsa_system_sgpr_workgroup_id_x 1
		.amdhsa_system_sgpr_workgroup_id_y 0
		.amdhsa_system_sgpr_workgroup_id_z 0
		.amdhsa_system_sgpr_workgroup_info 0
		.amdhsa_system_vgpr_workitem_id 1
		.amdhsa_next_free_vgpr 33
		.amdhsa_next_free_sgpr 16
		.amdhsa_reserve_vcc 1
		.amdhsa_float_round_mode_32 0
		.amdhsa_float_round_mode_16_64 0
		.amdhsa_float_denorm_mode_32 3
		.amdhsa_float_denorm_mode_16_64 3
		.amdhsa_dx10_clamp 1
		.amdhsa_ieee_mode 1
		.amdhsa_fp16_overflow 0
		.amdhsa_workgroup_processor_mode 1
		.amdhsa_memory_ordered 1
		.amdhsa_forward_progress 0
		.amdhsa_shared_vgpr_count 0
		.amdhsa_exception_fp_ieee_invalid_op 0
		.amdhsa_exception_fp_denorm_src 0
		.amdhsa_exception_fp_ieee_div_zero 0
		.amdhsa_exception_fp_ieee_overflow 0
		.amdhsa_exception_fp_ieee_underflow 0
		.amdhsa_exception_fp_ieee_inexact 0
		.amdhsa_exception_int_div_zero 0
	.end_amdhsa_kernel
	.section	.text._ZN5aiter14HGEMV_WFPerRowILi64ELi512ELi1ELi8EEEviiPKDF16_iS2_PDF16_,"axG",@progbits,_ZN5aiter14HGEMV_WFPerRowILi64ELi512ELi1ELi8EEEviiPKDF16_iS2_PDF16_,comdat
.Lfunc_end86:
	.size	_ZN5aiter14HGEMV_WFPerRowILi64ELi512ELi1ELi8EEEviiPKDF16_iS2_PDF16_, .Lfunc_end86-_ZN5aiter14HGEMV_WFPerRowILi64ELi512ELi1ELi8EEEviiPKDF16_iS2_PDF16_
                                        ; -- End function
	.section	.AMDGPU.csdata,"",@progbits
; Kernel info:
; codeLenInByte = 1000
; NumSgprs: 18
; NumVgprs: 33
; ScratchSize: 0
; MemoryBound: 0
; FloatMode: 240
; IeeeMode: 1
; LDSByteSize: 0 bytes/workgroup (compile time only)
; SGPRBlocks: 2
; VGPRBlocks: 4
; NumSGPRsForWavesPerEU: 18
; NumVGPRsForWavesPerEU: 33
; Occupancy: 16
; WaveLimiterHint : 1
; COMPUTE_PGM_RSRC2:SCRATCH_EN: 0
; COMPUTE_PGM_RSRC2:USER_SGPR: 15
; COMPUTE_PGM_RSRC2:TRAP_HANDLER: 0
; COMPUTE_PGM_RSRC2:TGID_X_EN: 1
; COMPUTE_PGM_RSRC2:TGID_Y_EN: 0
; COMPUTE_PGM_RSRC2:TGID_Z_EN: 0
; COMPUTE_PGM_RSRC2:TIDIG_COMP_CNT: 1
	.text
	.p2alignl 7, 3214868480
	.fill 96, 4, 3214868480
	.type	__const.__assert_fail.fmt,@object ; @__const.__assert_fail.fmt
	.section	.rodata.str1.16,"aMS",@progbits,1
	.p2align	4, 0x0
__const.__assert_fail.fmt:
	.asciz	"%s:%u: %s: Device-side assertion `%s' failed.\n"
	.size	__const.__assert_fail.fmt, 47

	.type	.str.1,@object                  ; @.str.1
	.section	.rodata.str1.1,"aMS",@progbits,1
.str.1:
	.asciz	"false"
	.size	.str.1, 6

	.type	.str.2,@object                  ; @.str.2
.str.2:
	.asciz	"/root/src/amdgpu-assembly/repos/ROCm__aiter/csrc/kernels/custom_kernels.cu"
	.size	.str.2, 75

	.type	__PRETTY_FUNCTION__._ZN5aiter32wv_splitk_small_fp16_bf16_kernelI6__halfLi64ELi1ELi1ELi8ELi4ELi1EEEviiPKT_S4_PS2_ii,@object ; @__PRETTY_FUNCTION__._ZN5aiter32wv_splitk_small_fp16_bf16_kernelI6__halfLi64ELi1ELi1ELi8ELi4ELi1EEEviiPKT_S4_PS2_ii
__PRETTY_FUNCTION__._ZN5aiter32wv_splitk_small_fp16_bf16_kernelI6__halfLi64ELi1ELi1ELi8ELi4ELi1EEEviiPKT_S4_PS2_ii:
	.asciz	"void aiter::wv_splitk_small_fp16_bf16_kernel(const int, const int, const scalar_t *, const scalar_t *__restrict, scalar_t *, const int, const int) [scalar_t = __half, THRDS = 64, YTILE = 1, WvPrGrp = 1, A_CHUNK = 8, UNRL = 4, N = 1]"
	.size	__PRETTY_FUNCTION__._ZN5aiter32wv_splitk_small_fp16_bf16_kernelI6__halfLi64ELi1ELi1ELi8ELi4ELi1EEEviiPKT_S4_PS2_ii, 233

	.type	__PRETTY_FUNCTION__._ZN5aiter32wv_splitk_small_fp16_bf16_kernelI6__halfLi64ELi1ELi1ELi8ELi4ELi2EEEviiPKT_S4_PS2_ii,@object ; @__PRETTY_FUNCTION__._ZN5aiter32wv_splitk_small_fp16_bf16_kernelI6__halfLi64ELi1ELi1ELi8ELi4ELi2EEEviiPKT_S4_PS2_ii
__PRETTY_FUNCTION__._ZN5aiter32wv_splitk_small_fp16_bf16_kernelI6__halfLi64ELi1ELi1ELi8ELi4ELi2EEEviiPKT_S4_PS2_ii:
	.asciz	"void aiter::wv_splitk_small_fp16_bf16_kernel(const int, const int, const scalar_t *, const scalar_t *__restrict, scalar_t *, const int, const int) [scalar_t = __half, THRDS = 64, YTILE = 1, WvPrGrp = 1, A_CHUNK = 8, UNRL = 4, N = 2]"
	.size	__PRETTY_FUNCTION__._ZN5aiter32wv_splitk_small_fp16_bf16_kernelI6__halfLi64ELi1ELi1ELi8ELi4ELi2EEEviiPKT_S4_PS2_ii, 233

	.type	__PRETTY_FUNCTION__._ZN5aiter32wv_splitk_small_fp16_bf16_kernelI6__halfLi64ELi1ELi1ELi8ELi4ELi3EEEviiPKT_S4_PS2_ii,@object ; @__PRETTY_FUNCTION__._ZN5aiter32wv_splitk_small_fp16_bf16_kernelI6__halfLi64ELi1ELi1ELi8ELi4ELi3EEEviiPKT_S4_PS2_ii
__PRETTY_FUNCTION__._ZN5aiter32wv_splitk_small_fp16_bf16_kernelI6__halfLi64ELi1ELi1ELi8ELi4ELi3EEEviiPKT_S4_PS2_ii:
	.asciz	"void aiter::wv_splitk_small_fp16_bf16_kernel(const int, const int, const scalar_t *, const scalar_t *__restrict, scalar_t *, const int, const int) [scalar_t = __half, THRDS = 64, YTILE = 1, WvPrGrp = 1, A_CHUNK = 8, UNRL = 4, N = 3]"
	.size	__PRETTY_FUNCTION__._ZN5aiter32wv_splitk_small_fp16_bf16_kernelI6__halfLi64ELi1ELi1ELi8ELi4ELi3EEEviiPKT_S4_PS2_ii, 233

	.type	__PRETTY_FUNCTION__._ZN5aiter32wv_splitk_small_fp16_bf16_kernelI6__halfLi64ELi1ELi1ELi8ELi4ELi4EEEviiPKT_S4_PS2_ii,@object ; @__PRETTY_FUNCTION__._ZN5aiter32wv_splitk_small_fp16_bf16_kernelI6__halfLi64ELi1ELi1ELi8ELi4ELi4EEEviiPKT_S4_PS2_ii
__PRETTY_FUNCTION__._ZN5aiter32wv_splitk_small_fp16_bf16_kernelI6__halfLi64ELi1ELi1ELi8ELi4ELi4EEEviiPKT_S4_PS2_ii:
	.asciz	"void aiter::wv_splitk_small_fp16_bf16_kernel(const int, const int, const scalar_t *, const scalar_t *__restrict, scalar_t *, const int, const int) [scalar_t = __half, THRDS = 64, YTILE = 1, WvPrGrp = 1, A_CHUNK = 8, UNRL = 4, N = 4]"
	.size	__PRETTY_FUNCTION__._ZN5aiter32wv_splitk_small_fp16_bf16_kernelI6__halfLi64ELi1ELi1ELi8ELi4ELi4EEEviiPKT_S4_PS2_ii, 233

	.type	__PRETTY_FUNCTION__._ZN5aiter32wv_splitk_small_fp16_bf16_kernelI6__halfLi64ELi1ELi1ELi8ELi4ELi5EEEviiPKT_S4_PS2_ii,@object ; @__PRETTY_FUNCTION__._ZN5aiter32wv_splitk_small_fp16_bf16_kernelI6__halfLi64ELi1ELi1ELi8ELi4ELi5EEEviiPKT_S4_PS2_ii
__PRETTY_FUNCTION__._ZN5aiter32wv_splitk_small_fp16_bf16_kernelI6__halfLi64ELi1ELi1ELi8ELi4ELi5EEEviiPKT_S4_PS2_ii:
	.asciz	"void aiter::wv_splitk_small_fp16_bf16_kernel(const int, const int, const scalar_t *, const scalar_t *__restrict, scalar_t *, const int, const int) [scalar_t = __half, THRDS = 64, YTILE = 1, WvPrGrp = 1, A_CHUNK = 8, UNRL = 4, N = 5]"
	.size	__PRETTY_FUNCTION__._ZN5aiter32wv_splitk_small_fp16_bf16_kernelI6__halfLi64ELi1ELi1ELi8ELi4ELi5EEEviiPKT_S4_PS2_ii, 233

	.type	__PRETTY_FUNCTION__._ZN5aiter32wv_splitk_small_fp16_bf16_kernelI6__halfLi64ELi1ELi1ELi8ELi4ELi6EEEviiPKT_S4_PS2_ii,@object ; @__PRETTY_FUNCTION__._ZN5aiter32wv_splitk_small_fp16_bf16_kernelI6__halfLi64ELi1ELi1ELi8ELi4ELi6EEEviiPKT_S4_PS2_ii
__PRETTY_FUNCTION__._ZN5aiter32wv_splitk_small_fp16_bf16_kernelI6__halfLi64ELi1ELi1ELi8ELi4ELi6EEEviiPKT_S4_PS2_ii:
	.asciz	"void aiter::wv_splitk_small_fp16_bf16_kernel(const int, const int, const scalar_t *, const scalar_t *__restrict, scalar_t *, const int, const int) [scalar_t = __half, THRDS = 64, YTILE = 1, WvPrGrp = 1, A_CHUNK = 8, UNRL = 4, N = 6]"
	.size	__PRETTY_FUNCTION__._ZN5aiter32wv_splitk_small_fp16_bf16_kernelI6__halfLi64ELi1ELi1ELi8ELi4ELi6EEEviiPKT_S4_PS2_ii, 233

	.type	__PRETTY_FUNCTION__._ZN5aiter32wv_splitk_small_fp16_bf16_kernelI6__halfLi64ELi1ELi1ELi8ELi4ELi7EEEviiPKT_S4_PS2_ii,@object ; @__PRETTY_FUNCTION__._ZN5aiter32wv_splitk_small_fp16_bf16_kernelI6__halfLi64ELi1ELi1ELi8ELi4ELi7EEEviiPKT_S4_PS2_ii
__PRETTY_FUNCTION__._ZN5aiter32wv_splitk_small_fp16_bf16_kernelI6__halfLi64ELi1ELi1ELi8ELi4ELi7EEEviiPKT_S4_PS2_ii:
	.asciz	"void aiter::wv_splitk_small_fp16_bf16_kernel(const int, const int, const scalar_t *, const scalar_t *__restrict, scalar_t *, const int, const int) [scalar_t = __half, THRDS = 64, YTILE = 1, WvPrGrp = 1, A_CHUNK = 8, UNRL = 4, N = 7]"
	.size	__PRETTY_FUNCTION__._ZN5aiter32wv_splitk_small_fp16_bf16_kernelI6__halfLi64ELi1ELi1ELi8ELi4ELi7EEEviiPKT_S4_PS2_ii, 233

	.type	__PRETTY_FUNCTION__._ZN5aiter32wv_splitk_small_fp16_bf16_kernelI6__halfLi64ELi1ELi1ELi8ELi4ELi8EEEviiPKT_S4_PS2_ii,@object ; @__PRETTY_FUNCTION__._ZN5aiter32wv_splitk_small_fp16_bf16_kernelI6__halfLi64ELi1ELi1ELi8ELi4ELi8EEEviiPKT_S4_PS2_ii
__PRETTY_FUNCTION__._ZN5aiter32wv_splitk_small_fp16_bf16_kernelI6__halfLi64ELi1ELi1ELi8ELi4ELi8EEEviiPKT_S4_PS2_ii:
	.asciz	"void aiter::wv_splitk_small_fp16_bf16_kernel(const int, const int, const scalar_t *, const scalar_t *__restrict, scalar_t *, const int, const int) [scalar_t = __half, THRDS = 64, YTILE = 1, WvPrGrp = 1, A_CHUNK = 8, UNRL = 4, N = 8]"
	.size	__PRETTY_FUNCTION__._ZN5aiter32wv_splitk_small_fp16_bf16_kernelI6__halfLi64ELi1ELi1ELi8ELi4ELi8EEEviiPKT_S4_PS2_ii, 233

	.type	__PRETTY_FUNCTION__._ZN5aiter32wv_splitk_small_fp16_bf16_kernelI6__halfLi64ELi1ELi1ELi8ELi4ELi9EEEviiPKT_S4_PS2_ii,@object ; @__PRETTY_FUNCTION__._ZN5aiter32wv_splitk_small_fp16_bf16_kernelI6__halfLi64ELi1ELi1ELi8ELi4ELi9EEEviiPKT_S4_PS2_ii
__PRETTY_FUNCTION__._ZN5aiter32wv_splitk_small_fp16_bf16_kernelI6__halfLi64ELi1ELi1ELi8ELi4ELi9EEEviiPKT_S4_PS2_ii:
	.asciz	"void aiter::wv_splitk_small_fp16_bf16_kernel(const int, const int, const scalar_t *, const scalar_t *__restrict, scalar_t *, const int, const int) [scalar_t = __half, THRDS = 64, YTILE = 1, WvPrGrp = 1, A_CHUNK = 8, UNRL = 4, N = 9]"
	.size	__PRETTY_FUNCTION__._ZN5aiter32wv_splitk_small_fp16_bf16_kernelI6__halfLi64ELi1ELi1ELi8ELi4ELi9EEEviiPKT_S4_PS2_ii, 233

	.type	__PRETTY_FUNCTION__._ZN5aiter32wv_splitk_small_fp16_bf16_kernelI6__halfLi64ELi1ELi1ELi8ELi4ELi10EEEviiPKT_S4_PS2_ii,@object ; @__PRETTY_FUNCTION__._ZN5aiter32wv_splitk_small_fp16_bf16_kernelI6__halfLi64ELi1ELi1ELi8ELi4ELi10EEEviiPKT_S4_PS2_ii
__PRETTY_FUNCTION__._ZN5aiter32wv_splitk_small_fp16_bf16_kernelI6__halfLi64ELi1ELi1ELi8ELi4ELi10EEEviiPKT_S4_PS2_ii:
	.asciz	"void aiter::wv_splitk_small_fp16_bf16_kernel(const int, const int, const scalar_t *, const scalar_t *__restrict, scalar_t *, const int, const int) [scalar_t = __half, THRDS = 64, YTILE = 1, WvPrGrp = 1, A_CHUNK = 8, UNRL = 4, N = 10]"
	.size	__PRETTY_FUNCTION__._ZN5aiter32wv_splitk_small_fp16_bf16_kernelI6__halfLi64ELi1ELi1ELi8ELi4ELi10EEEviiPKT_S4_PS2_ii, 234

	.type	__PRETTY_FUNCTION__._ZN5aiter32wv_splitk_small_fp16_bf16_kernelI6__halfLi64ELi1ELi1ELi8ELi4ELi11EEEviiPKT_S4_PS2_ii,@object ; @__PRETTY_FUNCTION__._ZN5aiter32wv_splitk_small_fp16_bf16_kernelI6__halfLi64ELi1ELi1ELi8ELi4ELi11EEEviiPKT_S4_PS2_ii
__PRETTY_FUNCTION__._ZN5aiter32wv_splitk_small_fp16_bf16_kernelI6__halfLi64ELi1ELi1ELi8ELi4ELi11EEEviiPKT_S4_PS2_ii:
	.asciz	"void aiter::wv_splitk_small_fp16_bf16_kernel(const int, const int, const scalar_t *, const scalar_t *__restrict, scalar_t *, const int, const int) [scalar_t = __half, THRDS = 64, YTILE = 1, WvPrGrp = 1, A_CHUNK = 8, UNRL = 4, N = 11]"
	.size	__PRETTY_FUNCTION__._ZN5aiter32wv_splitk_small_fp16_bf16_kernelI6__halfLi64ELi1ELi1ELi8ELi4ELi11EEEviiPKT_S4_PS2_ii, 234

	.type	__PRETTY_FUNCTION__._ZN5aiter32wv_splitk_small_fp16_bf16_kernelI6__halfLi64ELi1ELi1ELi8ELi4ELi12EEEviiPKT_S4_PS2_ii,@object ; @__PRETTY_FUNCTION__._ZN5aiter32wv_splitk_small_fp16_bf16_kernelI6__halfLi64ELi1ELi1ELi8ELi4ELi12EEEviiPKT_S4_PS2_ii
__PRETTY_FUNCTION__._ZN5aiter32wv_splitk_small_fp16_bf16_kernelI6__halfLi64ELi1ELi1ELi8ELi4ELi12EEEviiPKT_S4_PS2_ii:
	.asciz	"void aiter::wv_splitk_small_fp16_bf16_kernel(const int, const int, const scalar_t *, const scalar_t *__restrict, scalar_t *, const int, const int) [scalar_t = __half, THRDS = 64, YTILE = 1, WvPrGrp = 1, A_CHUNK = 8, UNRL = 4, N = 12]"
	.size	__PRETTY_FUNCTION__._ZN5aiter32wv_splitk_small_fp16_bf16_kernelI6__halfLi64ELi1ELi1ELi8ELi4ELi12EEEviiPKT_S4_PS2_ii, 234

	.type	__PRETTY_FUNCTION__._ZN5aiter32wv_splitk_small_fp16_bf16_kernelI6__halfLi64ELi1ELi1ELi8ELi4ELi13EEEviiPKT_S4_PS2_ii,@object ; @__PRETTY_FUNCTION__._ZN5aiter32wv_splitk_small_fp16_bf16_kernelI6__halfLi64ELi1ELi1ELi8ELi4ELi13EEEviiPKT_S4_PS2_ii
__PRETTY_FUNCTION__._ZN5aiter32wv_splitk_small_fp16_bf16_kernelI6__halfLi64ELi1ELi1ELi8ELi4ELi13EEEviiPKT_S4_PS2_ii:
	.asciz	"void aiter::wv_splitk_small_fp16_bf16_kernel(const int, const int, const scalar_t *, const scalar_t *__restrict, scalar_t *, const int, const int) [scalar_t = __half, THRDS = 64, YTILE = 1, WvPrGrp = 1, A_CHUNK = 8, UNRL = 4, N = 13]"
	.size	__PRETTY_FUNCTION__._ZN5aiter32wv_splitk_small_fp16_bf16_kernelI6__halfLi64ELi1ELi1ELi8ELi4ELi13EEEviiPKT_S4_PS2_ii, 234

	.type	__PRETTY_FUNCTION__._ZN5aiter32wv_splitk_small_fp16_bf16_kernelI6__halfLi64ELi1ELi1ELi8ELi4ELi14EEEviiPKT_S4_PS2_ii,@object ; @__PRETTY_FUNCTION__._ZN5aiter32wv_splitk_small_fp16_bf16_kernelI6__halfLi64ELi1ELi1ELi8ELi4ELi14EEEviiPKT_S4_PS2_ii
__PRETTY_FUNCTION__._ZN5aiter32wv_splitk_small_fp16_bf16_kernelI6__halfLi64ELi1ELi1ELi8ELi4ELi14EEEviiPKT_S4_PS2_ii:
	.asciz	"void aiter::wv_splitk_small_fp16_bf16_kernel(const int, const int, const scalar_t *, const scalar_t *__restrict, scalar_t *, const int, const int) [scalar_t = __half, THRDS = 64, YTILE = 1, WvPrGrp = 1, A_CHUNK = 8, UNRL = 4, N = 14]"
	.size	__PRETTY_FUNCTION__._ZN5aiter32wv_splitk_small_fp16_bf16_kernelI6__halfLi64ELi1ELi1ELi8ELi4ELi14EEEviiPKT_S4_PS2_ii, 234

	.type	__PRETTY_FUNCTION__._ZN5aiter32wv_splitk_small_fp16_bf16_kernelI6__halfLi64ELi1ELi1ELi8ELi4ELi15EEEviiPKT_S4_PS2_ii,@object ; @__PRETTY_FUNCTION__._ZN5aiter32wv_splitk_small_fp16_bf16_kernelI6__halfLi64ELi1ELi1ELi8ELi4ELi15EEEviiPKT_S4_PS2_ii
__PRETTY_FUNCTION__._ZN5aiter32wv_splitk_small_fp16_bf16_kernelI6__halfLi64ELi1ELi1ELi8ELi4ELi15EEEviiPKT_S4_PS2_ii:
	.asciz	"void aiter::wv_splitk_small_fp16_bf16_kernel(const int, const int, const scalar_t *, const scalar_t *__restrict, scalar_t *, const int, const int) [scalar_t = __half, THRDS = 64, YTILE = 1, WvPrGrp = 1, A_CHUNK = 8, UNRL = 4, N = 15]"
	.size	__PRETTY_FUNCTION__._ZN5aiter32wv_splitk_small_fp16_bf16_kernelI6__halfLi64ELi1ELi1ELi8ELi4ELi15EEEviiPKT_S4_PS2_ii, 234

	.type	__PRETTY_FUNCTION__._ZN5aiter32wv_splitk_small_fp16_bf16_kernelI6__halfLi64ELi1ELi1ELi8ELi4ELi16EEEviiPKT_S4_PS2_ii,@object ; @__PRETTY_FUNCTION__._ZN5aiter32wv_splitk_small_fp16_bf16_kernelI6__halfLi64ELi1ELi1ELi8ELi4ELi16EEEviiPKT_S4_PS2_ii
__PRETTY_FUNCTION__._ZN5aiter32wv_splitk_small_fp16_bf16_kernelI6__halfLi64ELi1ELi1ELi8ELi4ELi16EEEviiPKT_S4_PS2_ii:
	.asciz	"void aiter::wv_splitk_small_fp16_bf16_kernel(const int, const int, const scalar_t *, const scalar_t *__restrict, scalar_t *, const int, const int) [scalar_t = __half, THRDS = 64, YTILE = 1, WvPrGrp = 1, A_CHUNK = 8, UNRL = 4, N = 16]"
	.size	__PRETTY_FUNCTION__._ZN5aiter32wv_splitk_small_fp16_bf16_kernelI6__halfLi64ELi1ELi1ELi8ELi4ELi16EEEviiPKT_S4_PS2_ii, 234

	.type	__PRETTY_FUNCTION__._ZN5aiter32wv_splitk_small_fp16_bf16_kernelI14__hip_bfloat16Li64ELi1ELi1ELi8ELi4ELi1EEEviiPKT_S4_PS2_ii,@object ; @__PRETTY_FUNCTION__._ZN5aiter32wv_splitk_small_fp16_bf16_kernelI14__hip_bfloat16Li64ELi1ELi1ELi8ELi4ELi1EEEviiPKT_S4_PS2_ii
__PRETTY_FUNCTION__._ZN5aiter32wv_splitk_small_fp16_bf16_kernelI14__hip_bfloat16Li64ELi1ELi1ELi8ELi4ELi1EEEviiPKT_S4_PS2_ii:
	.asciz	"void aiter::wv_splitk_small_fp16_bf16_kernel(const int, const int, const scalar_t *, const scalar_t *__restrict, scalar_t *, const int, const int) [scalar_t = __hip_bfloat16, THRDS = 64, YTILE = 1, WvPrGrp = 1, A_CHUNK = 8, UNRL = 4, N = 1]"
	.size	__PRETTY_FUNCTION__._ZN5aiter32wv_splitk_small_fp16_bf16_kernelI14__hip_bfloat16Li64ELi1ELi1ELi8ELi4ELi1EEEviiPKT_S4_PS2_ii, 241

	.type	__PRETTY_FUNCTION__._ZN5aiter32wv_splitk_small_fp16_bf16_kernelI14__hip_bfloat16Li64ELi1ELi1ELi8ELi4ELi2EEEviiPKT_S4_PS2_ii,@object ; @__PRETTY_FUNCTION__._ZN5aiter32wv_splitk_small_fp16_bf16_kernelI14__hip_bfloat16Li64ELi1ELi1ELi8ELi4ELi2EEEviiPKT_S4_PS2_ii
__PRETTY_FUNCTION__._ZN5aiter32wv_splitk_small_fp16_bf16_kernelI14__hip_bfloat16Li64ELi1ELi1ELi8ELi4ELi2EEEviiPKT_S4_PS2_ii:
	.asciz	"void aiter::wv_splitk_small_fp16_bf16_kernel(const int, const int, const scalar_t *, const scalar_t *__restrict, scalar_t *, const int, const int) [scalar_t = __hip_bfloat16, THRDS = 64, YTILE = 1, WvPrGrp = 1, A_CHUNK = 8, UNRL = 4, N = 2]"
	.size	__PRETTY_FUNCTION__._ZN5aiter32wv_splitk_small_fp16_bf16_kernelI14__hip_bfloat16Li64ELi1ELi1ELi8ELi4ELi2EEEviiPKT_S4_PS2_ii, 241

	.type	__PRETTY_FUNCTION__._ZN5aiter32wv_splitk_small_fp16_bf16_kernelI14__hip_bfloat16Li64ELi1ELi1ELi8ELi4ELi3EEEviiPKT_S4_PS2_ii,@object ; @__PRETTY_FUNCTION__._ZN5aiter32wv_splitk_small_fp16_bf16_kernelI14__hip_bfloat16Li64ELi1ELi1ELi8ELi4ELi3EEEviiPKT_S4_PS2_ii
__PRETTY_FUNCTION__._ZN5aiter32wv_splitk_small_fp16_bf16_kernelI14__hip_bfloat16Li64ELi1ELi1ELi8ELi4ELi3EEEviiPKT_S4_PS2_ii:
	.asciz	"void aiter::wv_splitk_small_fp16_bf16_kernel(const int, const int, const scalar_t *, const scalar_t *__restrict, scalar_t *, const int, const int) [scalar_t = __hip_bfloat16, THRDS = 64, YTILE = 1, WvPrGrp = 1, A_CHUNK = 8, UNRL = 4, N = 3]"
	.size	__PRETTY_FUNCTION__._ZN5aiter32wv_splitk_small_fp16_bf16_kernelI14__hip_bfloat16Li64ELi1ELi1ELi8ELi4ELi3EEEviiPKT_S4_PS2_ii, 241

	.type	__PRETTY_FUNCTION__._ZN5aiter32wv_splitk_small_fp16_bf16_kernelI14__hip_bfloat16Li64ELi1ELi1ELi8ELi4ELi4EEEviiPKT_S4_PS2_ii,@object ; @__PRETTY_FUNCTION__._ZN5aiter32wv_splitk_small_fp16_bf16_kernelI14__hip_bfloat16Li64ELi1ELi1ELi8ELi4ELi4EEEviiPKT_S4_PS2_ii
__PRETTY_FUNCTION__._ZN5aiter32wv_splitk_small_fp16_bf16_kernelI14__hip_bfloat16Li64ELi1ELi1ELi8ELi4ELi4EEEviiPKT_S4_PS2_ii:
	.asciz	"void aiter::wv_splitk_small_fp16_bf16_kernel(const int, const int, const scalar_t *, const scalar_t *__restrict, scalar_t *, const int, const int) [scalar_t = __hip_bfloat16, THRDS = 64, YTILE = 1, WvPrGrp = 1, A_CHUNK = 8, UNRL = 4, N = 4]"
	.size	__PRETTY_FUNCTION__._ZN5aiter32wv_splitk_small_fp16_bf16_kernelI14__hip_bfloat16Li64ELi1ELi1ELi8ELi4ELi4EEEviiPKT_S4_PS2_ii, 241

	.type	__PRETTY_FUNCTION__._ZN5aiter32wv_splitk_small_fp16_bf16_kernelI14__hip_bfloat16Li64ELi1ELi1ELi8ELi4ELi5EEEviiPKT_S4_PS2_ii,@object ; @__PRETTY_FUNCTION__._ZN5aiter32wv_splitk_small_fp16_bf16_kernelI14__hip_bfloat16Li64ELi1ELi1ELi8ELi4ELi5EEEviiPKT_S4_PS2_ii
__PRETTY_FUNCTION__._ZN5aiter32wv_splitk_small_fp16_bf16_kernelI14__hip_bfloat16Li64ELi1ELi1ELi8ELi4ELi5EEEviiPKT_S4_PS2_ii:
	.asciz	"void aiter::wv_splitk_small_fp16_bf16_kernel(const int, const int, const scalar_t *, const scalar_t *__restrict, scalar_t *, const int, const int) [scalar_t = __hip_bfloat16, THRDS = 64, YTILE = 1, WvPrGrp = 1, A_CHUNK = 8, UNRL = 4, N = 5]"
	.size	__PRETTY_FUNCTION__._ZN5aiter32wv_splitk_small_fp16_bf16_kernelI14__hip_bfloat16Li64ELi1ELi1ELi8ELi4ELi5EEEviiPKT_S4_PS2_ii, 241

	.type	__PRETTY_FUNCTION__._ZN5aiter32wv_splitk_small_fp16_bf16_kernelI14__hip_bfloat16Li64ELi1ELi1ELi8ELi4ELi6EEEviiPKT_S4_PS2_ii,@object ; @__PRETTY_FUNCTION__._ZN5aiter32wv_splitk_small_fp16_bf16_kernelI14__hip_bfloat16Li64ELi1ELi1ELi8ELi4ELi6EEEviiPKT_S4_PS2_ii
__PRETTY_FUNCTION__._ZN5aiter32wv_splitk_small_fp16_bf16_kernelI14__hip_bfloat16Li64ELi1ELi1ELi8ELi4ELi6EEEviiPKT_S4_PS2_ii:
	.asciz	"void aiter::wv_splitk_small_fp16_bf16_kernel(const int, const int, const scalar_t *, const scalar_t *__restrict, scalar_t *, const int, const int) [scalar_t = __hip_bfloat16, THRDS = 64, YTILE = 1, WvPrGrp = 1, A_CHUNK = 8, UNRL = 4, N = 6]"
	.size	__PRETTY_FUNCTION__._ZN5aiter32wv_splitk_small_fp16_bf16_kernelI14__hip_bfloat16Li64ELi1ELi1ELi8ELi4ELi6EEEviiPKT_S4_PS2_ii, 241

	.type	__PRETTY_FUNCTION__._ZN5aiter32wv_splitk_small_fp16_bf16_kernelI14__hip_bfloat16Li64ELi1ELi1ELi8ELi4ELi7EEEviiPKT_S4_PS2_ii,@object ; @__PRETTY_FUNCTION__._ZN5aiter32wv_splitk_small_fp16_bf16_kernelI14__hip_bfloat16Li64ELi1ELi1ELi8ELi4ELi7EEEviiPKT_S4_PS2_ii
__PRETTY_FUNCTION__._ZN5aiter32wv_splitk_small_fp16_bf16_kernelI14__hip_bfloat16Li64ELi1ELi1ELi8ELi4ELi7EEEviiPKT_S4_PS2_ii:
	.asciz	"void aiter::wv_splitk_small_fp16_bf16_kernel(const int, const int, const scalar_t *, const scalar_t *__restrict, scalar_t *, const int, const int) [scalar_t = __hip_bfloat16, THRDS = 64, YTILE = 1, WvPrGrp = 1, A_CHUNK = 8, UNRL = 4, N = 7]"
	.size	__PRETTY_FUNCTION__._ZN5aiter32wv_splitk_small_fp16_bf16_kernelI14__hip_bfloat16Li64ELi1ELi1ELi8ELi4ELi7EEEviiPKT_S4_PS2_ii, 241

	.type	__PRETTY_FUNCTION__._ZN5aiter32wv_splitk_small_fp16_bf16_kernelI14__hip_bfloat16Li64ELi1ELi1ELi8ELi4ELi8EEEviiPKT_S4_PS2_ii,@object ; @__PRETTY_FUNCTION__._ZN5aiter32wv_splitk_small_fp16_bf16_kernelI14__hip_bfloat16Li64ELi1ELi1ELi8ELi4ELi8EEEviiPKT_S4_PS2_ii
__PRETTY_FUNCTION__._ZN5aiter32wv_splitk_small_fp16_bf16_kernelI14__hip_bfloat16Li64ELi1ELi1ELi8ELi4ELi8EEEviiPKT_S4_PS2_ii:
	.asciz	"void aiter::wv_splitk_small_fp16_bf16_kernel(const int, const int, const scalar_t *, const scalar_t *__restrict, scalar_t *, const int, const int) [scalar_t = __hip_bfloat16, THRDS = 64, YTILE = 1, WvPrGrp = 1, A_CHUNK = 8, UNRL = 4, N = 8]"
	.size	__PRETTY_FUNCTION__._ZN5aiter32wv_splitk_small_fp16_bf16_kernelI14__hip_bfloat16Li64ELi1ELi1ELi8ELi4ELi8EEEviiPKT_S4_PS2_ii, 241

	.type	__PRETTY_FUNCTION__._ZN5aiter32wv_splitk_small_fp16_bf16_kernelI14__hip_bfloat16Li64ELi1ELi1ELi8ELi4ELi9EEEviiPKT_S4_PS2_ii,@object ; @__PRETTY_FUNCTION__._ZN5aiter32wv_splitk_small_fp16_bf16_kernelI14__hip_bfloat16Li64ELi1ELi1ELi8ELi4ELi9EEEviiPKT_S4_PS2_ii
__PRETTY_FUNCTION__._ZN5aiter32wv_splitk_small_fp16_bf16_kernelI14__hip_bfloat16Li64ELi1ELi1ELi8ELi4ELi9EEEviiPKT_S4_PS2_ii:
	.asciz	"void aiter::wv_splitk_small_fp16_bf16_kernel(const int, const int, const scalar_t *, const scalar_t *__restrict, scalar_t *, const int, const int) [scalar_t = __hip_bfloat16, THRDS = 64, YTILE = 1, WvPrGrp = 1, A_CHUNK = 8, UNRL = 4, N = 9]"
	.size	__PRETTY_FUNCTION__._ZN5aiter32wv_splitk_small_fp16_bf16_kernelI14__hip_bfloat16Li64ELi1ELi1ELi8ELi4ELi9EEEviiPKT_S4_PS2_ii, 241

	.type	__PRETTY_FUNCTION__._ZN5aiter32wv_splitk_small_fp16_bf16_kernelI14__hip_bfloat16Li64ELi1ELi1ELi8ELi4ELi10EEEviiPKT_S4_PS2_ii,@object ; @__PRETTY_FUNCTION__._ZN5aiter32wv_splitk_small_fp16_bf16_kernelI14__hip_bfloat16Li64ELi1ELi1ELi8ELi4ELi10EEEviiPKT_S4_PS2_ii
__PRETTY_FUNCTION__._ZN5aiter32wv_splitk_small_fp16_bf16_kernelI14__hip_bfloat16Li64ELi1ELi1ELi8ELi4ELi10EEEviiPKT_S4_PS2_ii:
	.asciz	"void aiter::wv_splitk_small_fp16_bf16_kernel(const int, const int, const scalar_t *, const scalar_t *__restrict, scalar_t *, const int, const int) [scalar_t = __hip_bfloat16, THRDS = 64, YTILE = 1, WvPrGrp = 1, A_CHUNK = 8, UNRL = 4, N = 10]"
	.size	__PRETTY_FUNCTION__._ZN5aiter32wv_splitk_small_fp16_bf16_kernelI14__hip_bfloat16Li64ELi1ELi1ELi8ELi4ELi10EEEviiPKT_S4_PS2_ii, 242

	.type	__PRETTY_FUNCTION__._ZN5aiter32wv_splitk_small_fp16_bf16_kernelI14__hip_bfloat16Li64ELi1ELi1ELi8ELi4ELi11EEEviiPKT_S4_PS2_ii,@object ; @__PRETTY_FUNCTION__._ZN5aiter32wv_splitk_small_fp16_bf16_kernelI14__hip_bfloat16Li64ELi1ELi1ELi8ELi4ELi11EEEviiPKT_S4_PS2_ii
__PRETTY_FUNCTION__._ZN5aiter32wv_splitk_small_fp16_bf16_kernelI14__hip_bfloat16Li64ELi1ELi1ELi8ELi4ELi11EEEviiPKT_S4_PS2_ii:
	.asciz	"void aiter::wv_splitk_small_fp16_bf16_kernel(const int, const int, const scalar_t *, const scalar_t *__restrict, scalar_t *, const int, const int) [scalar_t = __hip_bfloat16, THRDS = 64, YTILE = 1, WvPrGrp = 1, A_CHUNK = 8, UNRL = 4, N = 11]"
	.size	__PRETTY_FUNCTION__._ZN5aiter32wv_splitk_small_fp16_bf16_kernelI14__hip_bfloat16Li64ELi1ELi1ELi8ELi4ELi11EEEviiPKT_S4_PS2_ii, 242

	.type	__PRETTY_FUNCTION__._ZN5aiter32wv_splitk_small_fp16_bf16_kernelI14__hip_bfloat16Li64ELi1ELi1ELi8ELi4ELi12EEEviiPKT_S4_PS2_ii,@object ; @__PRETTY_FUNCTION__._ZN5aiter32wv_splitk_small_fp16_bf16_kernelI14__hip_bfloat16Li64ELi1ELi1ELi8ELi4ELi12EEEviiPKT_S4_PS2_ii
__PRETTY_FUNCTION__._ZN5aiter32wv_splitk_small_fp16_bf16_kernelI14__hip_bfloat16Li64ELi1ELi1ELi8ELi4ELi12EEEviiPKT_S4_PS2_ii:
	.asciz	"void aiter::wv_splitk_small_fp16_bf16_kernel(const int, const int, const scalar_t *, const scalar_t *__restrict, scalar_t *, const int, const int) [scalar_t = __hip_bfloat16, THRDS = 64, YTILE = 1, WvPrGrp = 1, A_CHUNK = 8, UNRL = 4, N = 12]"
	.size	__PRETTY_FUNCTION__._ZN5aiter32wv_splitk_small_fp16_bf16_kernelI14__hip_bfloat16Li64ELi1ELi1ELi8ELi4ELi12EEEviiPKT_S4_PS2_ii, 242

	.type	__PRETTY_FUNCTION__._ZN5aiter32wv_splitk_small_fp16_bf16_kernelI14__hip_bfloat16Li64ELi1ELi1ELi8ELi4ELi13EEEviiPKT_S4_PS2_ii,@object ; @__PRETTY_FUNCTION__._ZN5aiter32wv_splitk_small_fp16_bf16_kernelI14__hip_bfloat16Li64ELi1ELi1ELi8ELi4ELi13EEEviiPKT_S4_PS2_ii
__PRETTY_FUNCTION__._ZN5aiter32wv_splitk_small_fp16_bf16_kernelI14__hip_bfloat16Li64ELi1ELi1ELi8ELi4ELi13EEEviiPKT_S4_PS2_ii:
	.asciz	"void aiter::wv_splitk_small_fp16_bf16_kernel(const int, const int, const scalar_t *, const scalar_t *__restrict, scalar_t *, const int, const int) [scalar_t = __hip_bfloat16, THRDS = 64, YTILE = 1, WvPrGrp = 1, A_CHUNK = 8, UNRL = 4, N = 13]"
	.size	__PRETTY_FUNCTION__._ZN5aiter32wv_splitk_small_fp16_bf16_kernelI14__hip_bfloat16Li64ELi1ELi1ELi8ELi4ELi13EEEviiPKT_S4_PS2_ii, 242

	.type	__PRETTY_FUNCTION__._ZN5aiter32wv_splitk_small_fp16_bf16_kernelI14__hip_bfloat16Li64ELi1ELi1ELi8ELi4ELi14EEEviiPKT_S4_PS2_ii,@object ; @__PRETTY_FUNCTION__._ZN5aiter32wv_splitk_small_fp16_bf16_kernelI14__hip_bfloat16Li64ELi1ELi1ELi8ELi4ELi14EEEviiPKT_S4_PS2_ii
__PRETTY_FUNCTION__._ZN5aiter32wv_splitk_small_fp16_bf16_kernelI14__hip_bfloat16Li64ELi1ELi1ELi8ELi4ELi14EEEviiPKT_S4_PS2_ii:
	.asciz	"void aiter::wv_splitk_small_fp16_bf16_kernel(const int, const int, const scalar_t *, const scalar_t *__restrict, scalar_t *, const int, const int) [scalar_t = __hip_bfloat16, THRDS = 64, YTILE = 1, WvPrGrp = 1, A_CHUNK = 8, UNRL = 4, N = 14]"
	.size	__PRETTY_FUNCTION__._ZN5aiter32wv_splitk_small_fp16_bf16_kernelI14__hip_bfloat16Li64ELi1ELi1ELi8ELi4ELi14EEEviiPKT_S4_PS2_ii, 242

	.type	__PRETTY_FUNCTION__._ZN5aiter32wv_splitk_small_fp16_bf16_kernelI14__hip_bfloat16Li64ELi1ELi1ELi8ELi4ELi15EEEviiPKT_S4_PS2_ii,@object ; @__PRETTY_FUNCTION__._ZN5aiter32wv_splitk_small_fp16_bf16_kernelI14__hip_bfloat16Li64ELi1ELi1ELi8ELi4ELi15EEEviiPKT_S4_PS2_ii
__PRETTY_FUNCTION__._ZN5aiter32wv_splitk_small_fp16_bf16_kernelI14__hip_bfloat16Li64ELi1ELi1ELi8ELi4ELi15EEEviiPKT_S4_PS2_ii:
	.asciz	"void aiter::wv_splitk_small_fp16_bf16_kernel(const int, const int, const scalar_t *, const scalar_t *__restrict, scalar_t *, const int, const int) [scalar_t = __hip_bfloat16, THRDS = 64, YTILE = 1, WvPrGrp = 1, A_CHUNK = 8, UNRL = 4, N = 15]"
	.size	__PRETTY_FUNCTION__._ZN5aiter32wv_splitk_small_fp16_bf16_kernelI14__hip_bfloat16Li64ELi1ELi1ELi8ELi4ELi15EEEviiPKT_S4_PS2_ii, 242

	.type	__PRETTY_FUNCTION__._ZN5aiter32wv_splitk_small_fp16_bf16_kernelI14__hip_bfloat16Li64ELi1ELi1ELi8ELi4ELi16EEEviiPKT_S4_PS2_ii,@object ; @__PRETTY_FUNCTION__._ZN5aiter32wv_splitk_small_fp16_bf16_kernelI14__hip_bfloat16Li64ELi1ELi1ELi8ELi4ELi16EEEviiPKT_S4_PS2_ii
__PRETTY_FUNCTION__._ZN5aiter32wv_splitk_small_fp16_bf16_kernelI14__hip_bfloat16Li64ELi1ELi1ELi8ELi4ELi16EEEviiPKT_S4_PS2_ii:
	.asciz	"void aiter::wv_splitk_small_fp16_bf16_kernel(const int, const int, const scalar_t *, const scalar_t *__restrict, scalar_t *, const int, const int) [scalar_t = __hip_bfloat16, THRDS = 64, YTILE = 1, WvPrGrp = 1, A_CHUNK = 8, UNRL = 4, N = 16]"
	.size	__PRETTY_FUNCTION__._ZN5aiter32wv_splitk_small_fp16_bf16_kernelI14__hip_bfloat16Li64ELi1ELi1ELi8ELi4ELi16EEEviiPKT_S4_PS2_ii, 242

	.type	__PRETTY_FUNCTION__._ZN5aiter16wvSplitK_hf_sml_I6__halfLi64ELi2ELi16ELi8ELi2ELi1EEEviiPKT_S4_PS2_ii,@object ; @__PRETTY_FUNCTION__._ZN5aiter16wvSplitK_hf_sml_I6__halfLi64ELi2ELi16ELi8ELi2ELi1EEEviiPKT_S4_PS2_ii
__PRETTY_FUNCTION__._ZN5aiter16wvSplitK_hf_sml_I6__halfLi64ELi2ELi16ELi8ELi2ELi1EEEviiPKT_S4_PS2_ii:
	.asciz	"void aiter::wvSplitK_hf_sml_(const int, const int, const scalar_t *, const scalar_t *__restrict, scalar_t *, const int, const int) [scalar_t = __half, THRDS = 64, YTILE = 2, WvPrGrp = 16, A_CHUNK = 8, UNRL = 2, N = 1]"
	.size	__PRETTY_FUNCTION__._ZN5aiter16wvSplitK_hf_sml_I6__halfLi64ELi2ELi16ELi8ELi2ELi1EEEviiPKT_S4_PS2_ii, 218

	.type	__PRETTY_FUNCTION__._ZN5aiter12wvSplitK_hf_I6__halfLi64ELi2ELi16ELi8ELi2ELi1EEEviiPKT_S4_PS2_ii,@object ; @__PRETTY_FUNCTION__._ZN5aiter12wvSplitK_hf_I6__halfLi64ELi2ELi16ELi8ELi2ELi1EEEviiPKT_S4_PS2_ii
__PRETTY_FUNCTION__._ZN5aiter12wvSplitK_hf_I6__halfLi64ELi2ELi16ELi8ELi2ELi1EEEviiPKT_S4_PS2_ii:
	.asciz	"void aiter::wvSplitK_hf_(const int, const int, const scalar_t *, const scalar_t *__restrict, scalar_t *, const int, const int) [scalar_t = __half, THRDS = 64, YTILE = 2, WvPrGrp = 16, A_CHUNK = 8, UNRL = 2, N = 1]"
	.size	__PRETTY_FUNCTION__._ZN5aiter12wvSplitK_hf_I6__halfLi64ELi2ELi16ELi8ELi2ELi1EEEviiPKT_S4_PS2_ii, 214

	.type	__PRETTY_FUNCTION__._ZN5aiter16wvSplitK_hf_big_I6__halfLi64ELi2ELi16ELi8ELi2ELi1EEEviiPKT_S4_PS2_ii,@object ; @__PRETTY_FUNCTION__._ZN5aiter16wvSplitK_hf_big_I6__halfLi64ELi2ELi16ELi8ELi2ELi1EEEviiPKT_S4_PS2_ii
__PRETTY_FUNCTION__._ZN5aiter16wvSplitK_hf_big_I6__halfLi64ELi2ELi16ELi8ELi2ELi1EEEviiPKT_S4_PS2_ii:
	.asciz	"void aiter::wvSplitK_hf_big_(const int, const int, const scalar_t *, const scalar_t *__restrict, scalar_t *, const int, const int) [scalar_t = __half, THRDS = 64, YTILE = 2, WvPrGrp = 16, A_CHUNK = 8, UNRL = 2, N = 1]"
	.size	__PRETTY_FUNCTION__._ZN5aiter16wvSplitK_hf_big_I6__halfLi64ELi2ELi16ELi8ELi2ELi1EEEviiPKT_S4_PS2_ii, 218

	.type	__PRETTY_FUNCTION__._ZN5aiter16wvSplitK_hf_sml_I6__halfLi64ELi2ELi16ELi8ELi2ELi2EEEviiPKT_S4_PS2_ii,@object ; @__PRETTY_FUNCTION__._ZN5aiter16wvSplitK_hf_sml_I6__halfLi64ELi2ELi16ELi8ELi2ELi2EEEviiPKT_S4_PS2_ii
__PRETTY_FUNCTION__._ZN5aiter16wvSplitK_hf_sml_I6__halfLi64ELi2ELi16ELi8ELi2ELi2EEEviiPKT_S4_PS2_ii:
	.asciz	"void aiter::wvSplitK_hf_sml_(const int, const int, const scalar_t *, const scalar_t *__restrict, scalar_t *, const int, const int) [scalar_t = __half, THRDS = 64, YTILE = 2, WvPrGrp = 16, A_CHUNK = 8, UNRL = 2, N = 2]"
	.size	__PRETTY_FUNCTION__._ZN5aiter16wvSplitK_hf_sml_I6__halfLi64ELi2ELi16ELi8ELi2ELi2EEEviiPKT_S4_PS2_ii, 218

	.type	__PRETTY_FUNCTION__._ZN5aiter12wvSplitK_hf_I6__halfLi64ELi2ELi16ELi8ELi2ELi2EEEviiPKT_S4_PS2_ii,@object ; @__PRETTY_FUNCTION__._ZN5aiter12wvSplitK_hf_I6__halfLi64ELi2ELi16ELi8ELi2ELi2EEEviiPKT_S4_PS2_ii
__PRETTY_FUNCTION__._ZN5aiter12wvSplitK_hf_I6__halfLi64ELi2ELi16ELi8ELi2ELi2EEEviiPKT_S4_PS2_ii:
	.asciz	"void aiter::wvSplitK_hf_(const int, const int, const scalar_t *, const scalar_t *__restrict, scalar_t *, const int, const int) [scalar_t = __half, THRDS = 64, YTILE = 2, WvPrGrp = 16, A_CHUNK = 8, UNRL = 2, N = 2]"
	.size	__PRETTY_FUNCTION__._ZN5aiter12wvSplitK_hf_I6__halfLi64ELi2ELi16ELi8ELi2ELi2EEEviiPKT_S4_PS2_ii, 214

	.type	__PRETTY_FUNCTION__._ZN5aiter16wvSplitK_hf_big_I6__halfLi64ELi2ELi16ELi8ELi2ELi2EEEviiPKT_S4_PS2_ii,@object ; @__PRETTY_FUNCTION__._ZN5aiter16wvSplitK_hf_big_I6__halfLi64ELi2ELi16ELi8ELi2ELi2EEEviiPKT_S4_PS2_ii
__PRETTY_FUNCTION__._ZN5aiter16wvSplitK_hf_big_I6__halfLi64ELi2ELi16ELi8ELi2ELi2EEEviiPKT_S4_PS2_ii:
	.asciz	"void aiter::wvSplitK_hf_big_(const int, const int, const scalar_t *, const scalar_t *__restrict, scalar_t *, const int, const int) [scalar_t = __half, THRDS = 64, YTILE = 2, WvPrGrp = 16, A_CHUNK = 8, UNRL = 2, N = 2]"
	.size	__PRETTY_FUNCTION__._ZN5aiter16wvSplitK_hf_big_I6__halfLi64ELi2ELi16ELi8ELi2ELi2EEEviiPKT_S4_PS2_ii, 218

	.type	__PRETTY_FUNCTION__._ZN5aiter16wvSplitK_hf_sml_I6__halfLi64ELi4ELi16ELi8ELi1ELi3EEEviiPKT_S4_PS2_ii,@object ; @__PRETTY_FUNCTION__._ZN5aiter16wvSplitK_hf_sml_I6__halfLi64ELi4ELi16ELi8ELi1ELi3EEEviiPKT_S4_PS2_ii
__PRETTY_FUNCTION__._ZN5aiter16wvSplitK_hf_sml_I6__halfLi64ELi4ELi16ELi8ELi1ELi3EEEviiPKT_S4_PS2_ii:
	.asciz	"void aiter::wvSplitK_hf_sml_(const int, const int, const scalar_t *, const scalar_t *__restrict, scalar_t *, const int, const int) [scalar_t = __half, THRDS = 64, YTILE = 4, WvPrGrp = 16, A_CHUNK = 8, UNRL = 1, N = 3]"
	.size	__PRETTY_FUNCTION__._ZN5aiter16wvSplitK_hf_sml_I6__halfLi64ELi4ELi16ELi8ELi1ELi3EEEviiPKT_S4_PS2_ii, 218

	.type	__PRETTY_FUNCTION__._ZN5aiter12wvSplitK_hf_I6__halfLi64ELi7ELi16ELi8ELi1ELi3EEEviiPKT_S4_PS2_ii,@object ; @__PRETTY_FUNCTION__._ZN5aiter12wvSplitK_hf_I6__halfLi64ELi7ELi16ELi8ELi1ELi3EEEviiPKT_S4_PS2_ii
__PRETTY_FUNCTION__._ZN5aiter12wvSplitK_hf_I6__halfLi64ELi7ELi16ELi8ELi1ELi3EEEviiPKT_S4_PS2_ii:
	.asciz	"void aiter::wvSplitK_hf_(const int, const int, const scalar_t *, const scalar_t *__restrict, scalar_t *, const int, const int) [scalar_t = __half, THRDS = 64, YTILE = 7, WvPrGrp = 16, A_CHUNK = 8, UNRL = 1, N = 3]"
	.size	__PRETTY_FUNCTION__._ZN5aiter12wvSplitK_hf_I6__halfLi64ELi7ELi16ELi8ELi1ELi3EEEviiPKT_S4_PS2_ii, 214

	.type	__PRETTY_FUNCTION__._ZN5aiter16wvSplitK_hf_big_I6__halfLi64ELi7ELi16ELi8ELi1ELi3EEEviiPKT_S4_PS2_ii,@object ; @__PRETTY_FUNCTION__._ZN5aiter16wvSplitK_hf_big_I6__halfLi64ELi7ELi16ELi8ELi1ELi3EEEviiPKT_S4_PS2_ii
__PRETTY_FUNCTION__._ZN5aiter16wvSplitK_hf_big_I6__halfLi64ELi7ELi16ELi8ELi1ELi3EEEviiPKT_S4_PS2_ii:
	.asciz	"void aiter::wvSplitK_hf_big_(const int, const int, const scalar_t *, const scalar_t *__restrict, scalar_t *, const int, const int) [scalar_t = __half, THRDS = 64, YTILE = 7, WvPrGrp = 16, A_CHUNK = 8, UNRL = 1, N = 3]"
	.size	__PRETTY_FUNCTION__._ZN5aiter16wvSplitK_hf_big_I6__halfLi64ELi7ELi16ELi8ELi1ELi3EEEviiPKT_S4_PS2_ii, 218

	.type	__PRETTY_FUNCTION__._ZN5aiter16wvSplitK_hf_sml_I6__halfLi64ELi4ELi16ELi8ELi1ELi4EEEviiPKT_S4_PS2_ii,@object ; @__PRETTY_FUNCTION__._ZN5aiter16wvSplitK_hf_sml_I6__halfLi64ELi4ELi16ELi8ELi1ELi4EEEviiPKT_S4_PS2_ii
__PRETTY_FUNCTION__._ZN5aiter16wvSplitK_hf_sml_I6__halfLi64ELi4ELi16ELi8ELi1ELi4EEEviiPKT_S4_PS2_ii:
	.asciz	"void aiter::wvSplitK_hf_sml_(const int, const int, const scalar_t *, const scalar_t *__restrict, scalar_t *, const int, const int) [scalar_t = __half, THRDS = 64, YTILE = 4, WvPrGrp = 16, A_CHUNK = 8, UNRL = 1, N = 4]"
	.size	__PRETTY_FUNCTION__._ZN5aiter16wvSplitK_hf_sml_I6__halfLi64ELi4ELi16ELi8ELi1ELi4EEEviiPKT_S4_PS2_ii, 218

	.type	__PRETTY_FUNCTION__._ZN5aiter12wvSplitK_hf_I6__halfLi64ELi7ELi16ELi8ELi1ELi4EEEviiPKT_S4_PS2_ii,@object ; @__PRETTY_FUNCTION__._ZN5aiter12wvSplitK_hf_I6__halfLi64ELi7ELi16ELi8ELi1ELi4EEEviiPKT_S4_PS2_ii
__PRETTY_FUNCTION__._ZN5aiter12wvSplitK_hf_I6__halfLi64ELi7ELi16ELi8ELi1ELi4EEEviiPKT_S4_PS2_ii:
	.asciz	"void aiter::wvSplitK_hf_(const int, const int, const scalar_t *, const scalar_t *__restrict, scalar_t *, const int, const int) [scalar_t = __half, THRDS = 64, YTILE = 7, WvPrGrp = 16, A_CHUNK = 8, UNRL = 1, N = 4]"
	.size	__PRETTY_FUNCTION__._ZN5aiter12wvSplitK_hf_I6__halfLi64ELi7ELi16ELi8ELi1ELi4EEEviiPKT_S4_PS2_ii, 214

	.type	__PRETTY_FUNCTION__._ZN5aiter16wvSplitK_hf_big_I6__halfLi64ELi7ELi16ELi8ELi1ELi4EEEviiPKT_S4_PS2_ii,@object ; @__PRETTY_FUNCTION__._ZN5aiter16wvSplitK_hf_big_I6__halfLi64ELi7ELi16ELi8ELi1ELi4EEEviiPKT_S4_PS2_ii
__PRETTY_FUNCTION__._ZN5aiter16wvSplitK_hf_big_I6__halfLi64ELi7ELi16ELi8ELi1ELi4EEEviiPKT_S4_PS2_ii:
	.asciz	"void aiter::wvSplitK_hf_big_(const int, const int, const scalar_t *, const scalar_t *__restrict, scalar_t *, const int, const int) [scalar_t = __half, THRDS = 64, YTILE = 7, WvPrGrp = 16, A_CHUNK = 8, UNRL = 1, N = 4]"
	.size	__PRETTY_FUNCTION__._ZN5aiter16wvSplitK_hf_big_I6__halfLi64ELi7ELi16ELi8ELi1ELi4EEEviiPKT_S4_PS2_ii, 218

	.type	__PRETTY_FUNCTION__._ZN5aiter16wvSplitK_hf_sml_I14__hip_bfloat16Li64ELi2ELi16ELi8ELi2ELi1EEEviiPKT_S4_PS2_ii,@object ; @__PRETTY_FUNCTION__._ZN5aiter16wvSplitK_hf_sml_I14__hip_bfloat16Li64ELi2ELi16ELi8ELi2ELi1EEEviiPKT_S4_PS2_ii
__PRETTY_FUNCTION__._ZN5aiter16wvSplitK_hf_sml_I14__hip_bfloat16Li64ELi2ELi16ELi8ELi2ELi1EEEviiPKT_S4_PS2_ii:
	.asciz	"void aiter::wvSplitK_hf_sml_(const int, const int, const scalar_t *, const scalar_t *__restrict, scalar_t *, const int, const int) [scalar_t = __hip_bfloat16, THRDS = 64, YTILE = 2, WvPrGrp = 16, A_CHUNK = 8, UNRL = 2, N = 1]"
	.size	__PRETTY_FUNCTION__._ZN5aiter16wvSplitK_hf_sml_I14__hip_bfloat16Li64ELi2ELi16ELi8ELi2ELi1EEEviiPKT_S4_PS2_ii, 226

	.type	__PRETTY_FUNCTION__._ZN5aiter12wvSplitK_hf_I14__hip_bfloat16Li64ELi2ELi16ELi8ELi2ELi1EEEviiPKT_S4_PS2_ii,@object ; @__PRETTY_FUNCTION__._ZN5aiter12wvSplitK_hf_I14__hip_bfloat16Li64ELi2ELi16ELi8ELi2ELi1EEEviiPKT_S4_PS2_ii
__PRETTY_FUNCTION__._ZN5aiter12wvSplitK_hf_I14__hip_bfloat16Li64ELi2ELi16ELi8ELi2ELi1EEEviiPKT_S4_PS2_ii:
	.asciz	"void aiter::wvSplitK_hf_(const int, const int, const scalar_t *, const scalar_t *__restrict, scalar_t *, const int, const int) [scalar_t = __hip_bfloat16, THRDS = 64, YTILE = 2, WvPrGrp = 16, A_CHUNK = 8, UNRL = 2, N = 1]"
	.size	__PRETTY_FUNCTION__._ZN5aiter12wvSplitK_hf_I14__hip_bfloat16Li64ELi2ELi16ELi8ELi2ELi1EEEviiPKT_S4_PS2_ii, 222

	.type	__PRETTY_FUNCTION__._ZN5aiter16wvSplitK_hf_big_I14__hip_bfloat16Li64ELi2ELi16ELi8ELi2ELi1EEEviiPKT_S4_PS2_ii,@object ; @__PRETTY_FUNCTION__._ZN5aiter16wvSplitK_hf_big_I14__hip_bfloat16Li64ELi2ELi16ELi8ELi2ELi1EEEviiPKT_S4_PS2_ii
__PRETTY_FUNCTION__._ZN5aiter16wvSplitK_hf_big_I14__hip_bfloat16Li64ELi2ELi16ELi8ELi2ELi1EEEviiPKT_S4_PS2_ii:
	.asciz	"void aiter::wvSplitK_hf_big_(const int, const int, const scalar_t *, const scalar_t *__restrict, scalar_t *, const int, const int) [scalar_t = __hip_bfloat16, THRDS = 64, YTILE = 2, WvPrGrp = 16, A_CHUNK = 8, UNRL = 2, N = 1]"
	.size	__PRETTY_FUNCTION__._ZN5aiter16wvSplitK_hf_big_I14__hip_bfloat16Li64ELi2ELi16ELi8ELi2ELi1EEEviiPKT_S4_PS2_ii, 226

	.type	__PRETTY_FUNCTION__._ZN5aiter16wvSplitK_hf_sml_I14__hip_bfloat16Li64ELi2ELi16ELi8ELi2ELi2EEEviiPKT_S4_PS2_ii,@object ; @__PRETTY_FUNCTION__._ZN5aiter16wvSplitK_hf_sml_I14__hip_bfloat16Li64ELi2ELi16ELi8ELi2ELi2EEEviiPKT_S4_PS2_ii
__PRETTY_FUNCTION__._ZN5aiter16wvSplitK_hf_sml_I14__hip_bfloat16Li64ELi2ELi16ELi8ELi2ELi2EEEviiPKT_S4_PS2_ii:
	.asciz	"void aiter::wvSplitK_hf_sml_(const int, const int, const scalar_t *, const scalar_t *__restrict, scalar_t *, const int, const int) [scalar_t = __hip_bfloat16, THRDS = 64, YTILE = 2, WvPrGrp = 16, A_CHUNK = 8, UNRL = 2, N = 2]"
	.size	__PRETTY_FUNCTION__._ZN5aiter16wvSplitK_hf_sml_I14__hip_bfloat16Li64ELi2ELi16ELi8ELi2ELi2EEEviiPKT_S4_PS2_ii, 226

	.type	__PRETTY_FUNCTION__._ZN5aiter12wvSplitK_hf_I14__hip_bfloat16Li64ELi2ELi16ELi8ELi2ELi2EEEviiPKT_S4_PS2_ii,@object ; @__PRETTY_FUNCTION__._ZN5aiter12wvSplitK_hf_I14__hip_bfloat16Li64ELi2ELi16ELi8ELi2ELi2EEEviiPKT_S4_PS2_ii
__PRETTY_FUNCTION__._ZN5aiter12wvSplitK_hf_I14__hip_bfloat16Li64ELi2ELi16ELi8ELi2ELi2EEEviiPKT_S4_PS2_ii:
	.asciz	"void aiter::wvSplitK_hf_(const int, const int, const scalar_t *, const scalar_t *__restrict, scalar_t *, const int, const int) [scalar_t = __hip_bfloat16, THRDS = 64, YTILE = 2, WvPrGrp = 16, A_CHUNK = 8, UNRL = 2, N = 2]"
	.size	__PRETTY_FUNCTION__._ZN5aiter12wvSplitK_hf_I14__hip_bfloat16Li64ELi2ELi16ELi8ELi2ELi2EEEviiPKT_S4_PS2_ii, 222

	.type	__PRETTY_FUNCTION__._ZN5aiter16wvSplitK_hf_big_I14__hip_bfloat16Li64ELi2ELi16ELi8ELi2ELi2EEEviiPKT_S4_PS2_ii,@object ; @__PRETTY_FUNCTION__._ZN5aiter16wvSplitK_hf_big_I14__hip_bfloat16Li64ELi2ELi16ELi8ELi2ELi2EEEviiPKT_S4_PS2_ii
__PRETTY_FUNCTION__._ZN5aiter16wvSplitK_hf_big_I14__hip_bfloat16Li64ELi2ELi16ELi8ELi2ELi2EEEviiPKT_S4_PS2_ii:
	.asciz	"void aiter::wvSplitK_hf_big_(const int, const int, const scalar_t *, const scalar_t *__restrict, scalar_t *, const int, const int) [scalar_t = __hip_bfloat16, THRDS = 64, YTILE = 2, WvPrGrp = 16, A_CHUNK = 8, UNRL = 2, N = 2]"
	.size	__PRETTY_FUNCTION__._ZN5aiter16wvSplitK_hf_big_I14__hip_bfloat16Li64ELi2ELi16ELi8ELi2ELi2EEEviiPKT_S4_PS2_ii, 226

	.type	__PRETTY_FUNCTION__._ZN5aiter16wvSplitK_hf_sml_I14__hip_bfloat16Li64ELi4ELi16ELi8ELi1ELi3EEEviiPKT_S4_PS2_ii,@object ; @__PRETTY_FUNCTION__._ZN5aiter16wvSplitK_hf_sml_I14__hip_bfloat16Li64ELi4ELi16ELi8ELi1ELi3EEEviiPKT_S4_PS2_ii
__PRETTY_FUNCTION__._ZN5aiter16wvSplitK_hf_sml_I14__hip_bfloat16Li64ELi4ELi16ELi8ELi1ELi3EEEviiPKT_S4_PS2_ii:
	.asciz	"void aiter::wvSplitK_hf_sml_(const int, const int, const scalar_t *, const scalar_t *__restrict, scalar_t *, const int, const int) [scalar_t = __hip_bfloat16, THRDS = 64, YTILE = 4, WvPrGrp = 16, A_CHUNK = 8, UNRL = 1, N = 3]"
	.size	__PRETTY_FUNCTION__._ZN5aiter16wvSplitK_hf_sml_I14__hip_bfloat16Li64ELi4ELi16ELi8ELi1ELi3EEEviiPKT_S4_PS2_ii, 226

	.type	__PRETTY_FUNCTION__._ZN5aiter12wvSplitK_hf_I14__hip_bfloat16Li64ELi7ELi16ELi8ELi1ELi3EEEviiPKT_S4_PS2_ii,@object ; @__PRETTY_FUNCTION__._ZN5aiter12wvSplitK_hf_I14__hip_bfloat16Li64ELi7ELi16ELi8ELi1ELi3EEEviiPKT_S4_PS2_ii
__PRETTY_FUNCTION__._ZN5aiter12wvSplitK_hf_I14__hip_bfloat16Li64ELi7ELi16ELi8ELi1ELi3EEEviiPKT_S4_PS2_ii:
	.asciz	"void aiter::wvSplitK_hf_(const int, const int, const scalar_t *, const scalar_t *__restrict, scalar_t *, const int, const int) [scalar_t = __hip_bfloat16, THRDS = 64, YTILE = 7, WvPrGrp = 16, A_CHUNK = 8, UNRL = 1, N = 3]"
	.size	__PRETTY_FUNCTION__._ZN5aiter12wvSplitK_hf_I14__hip_bfloat16Li64ELi7ELi16ELi8ELi1ELi3EEEviiPKT_S4_PS2_ii, 222

	.type	__PRETTY_FUNCTION__._ZN5aiter16wvSplitK_hf_big_I14__hip_bfloat16Li64ELi7ELi16ELi8ELi1ELi3EEEviiPKT_S4_PS2_ii,@object ; @__PRETTY_FUNCTION__._ZN5aiter16wvSplitK_hf_big_I14__hip_bfloat16Li64ELi7ELi16ELi8ELi1ELi3EEEviiPKT_S4_PS2_ii
__PRETTY_FUNCTION__._ZN5aiter16wvSplitK_hf_big_I14__hip_bfloat16Li64ELi7ELi16ELi8ELi1ELi3EEEviiPKT_S4_PS2_ii:
	.asciz	"void aiter::wvSplitK_hf_big_(const int, const int, const scalar_t *, const scalar_t *__restrict, scalar_t *, const int, const int) [scalar_t = __hip_bfloat16, THRDS = 64, YTILE = 7, WvPrGrp = 16, A_CHUNK = 8, UNRL = 1, N = 3]"
	.size	__PRETTY_FUNCTION__._ZN5aiter16wvSplitK_hf_big_I14__hip_bfloat16Li64ELi7ELi16ELi8ELi1ELi3EEEviiPKT_S4_PS2_ii, 226

	.type	__PRETTY_FUNCTION__._ZN5aiter16wvSplitK_hf_sml_I14__hip_bfloat16Li64ELi4ELi16ELi8ELi1ELi4EEEviiPKT_S4_PS2_ii,@object ; @__PRETTY_FUNCTION__._ZN5aiter16wvSplitK_hf_sml_I14__hip_bfloat16Li64ELi4ELi16ELi8ELi1ELi4EEEviiPKT_S4_PS2_ii
__PRETTY_FUNCTION__._ZN5aiter16wvSplitK_hf_sml_I14__hip_bfloat16Li64ELi4ELi16ELi8ELi1ELi4EEEviiPKT_S4_PS2_ii:
	.asciz	"void aiter::wvSplitK_hf_sml_(const int, const int, const scalar_t *, const scalar_t *__restrict, scalar_t *, const int, const int) [scalar_t = __hip_bfloat16, THRDS = 64, YTILE = 4, WvPrGrp = 16, A_CHUNK = 8, UNRL = 1, N = 4]"
	.size	__PRETTY_FUNCTION__._ZN5aiter16wvSplitK_hf_sml_I14__hip_bfloat16Li64ELi4ELi16ELi8ELi1ELi4EEEviiPKT_S4_PS2_ii, 226

	.type	__PRETTY_FUNCTION__._ZN5aiter12wvSplitK_hf_I14__hip_bfloat16Li64ELi7ELi16ELi8ELi1ELi4EEEviiPKT_S4_PS2_ii,@object ; @__PRETTY_FUNCTION__._ZN5aiter12wvSplitK_hf_I14__hip_bfloat16Li64ELi7ELi16ELi8ELi1ELi4EEEviiPKT_S4_PS2_ii
__PRETTY_FUNCTION__._ZN5aiter12wvSplitK_hf_I14__hip_bfloat16Li64ELi7ELi16ELi8ELi1ELi4EEEviiPKT_S4_PS2_ii:
	.asciz	"void aiter::wvSplitK_hf_(const int, const int, const scalar_t *, const scalar_t *__restrict, scalar_t *, const int, const int) [scalar_t = __hip_bfloat16, THRDS = 64, YTILE = 7, WvPrGrp = 16, A_CHUNK = 8, UNRL = 1, N = 4]"
	.size	__PRETTY_FUNCTION__._ZN5aiter12wvSplitK_hf_I14__hip_bfloat16Li64ELi7ELi16ELi8ELi1ELi4EEEviiPKT_S4_PS2_ii, 222

	.type	__PRETTY_FUNCTION__._ZN5aiter16wvSplitK_hf_big_I14__hip_bfloat16Li64ELi7ELi16ELi8ELi1ELi4EEEviiPKT_S4_PS2_ii,@object ; @__PRETTY_FUNCTION__._ZN5aiter16wvSplitK_hf_big_I14__hip_bfloat16Li64ELi7ELi16ELi8ELi1ELi4EEEviiPKT_S4_PS2_ii
__PRETTY_FUNCTION__._ZN5aiter16wvSplitK_hf_big_I14__hip_bfloat16Li64ELi7ELi16ELi8ELi1ELi4EEEviiPKT_S4_PS2_ii:
	.asciz	"void aiter::wvSplitK_hf_big_(const int, const int, const scalar_t *, const scalar_t *__restrict, scalar_t *, const int, const int) [scalar_t = __hip_bfloat16, THRDS = 64, YTILE = 7, WvPrGrp = 16, A_CHUNK = 8, UNRL = 1, N = 4]"
	.size	__PRETTY_FUNCTION__._ZN5aiter16wvSplitK_hf_big_I14__hip_bfloat16Li64ELi7ELi16ELi8ELi1ELi4EEEviiPKT_S4_PS2_ii, 226

	.type	__PRETTY_FUNCTION__._ZN5aiter17wvSplitKQ_hf_sml_I6__halfhLi64ELi2ELi16ELi16ELi2ELi1EEEviiiPKT0_S4_PT_PKfS8_ii,@object ; @__PRETTY_FUNCTION__._ZN5aiter17wvSplitKQ_hf_sml_I6__halfhLi64ELi2ELi16ELi16ELi2ELi1EEEviiiPKT0_S4_PT_PKfS8_ii
__PRETTY_FUNCTION__._ZN5aiter17wvSplitKQ_hf_sml_I6__halfhLi64ELi2ELi16ELi16ELi2ELi1EEEviiiPKT0_S4_PT_PKfS8_ii:
	.asciz	"void aiter::wvSplitKQ_hf_sml_(const int, const int, const int, const fp8_t *, const fp8_t *__restrict, scalar_t *, const float *__restrict, const float *__restrict, const int, const int) [scalar_t = __half, fp8_t = unsigned char, THRDS = 64, YTILE = 2, WvPrGrp = 16, A_CHUNK = 16, UNRL = 2, N = 1]"
	.size	__PRETTY_FUNCTION__._ZN5aiter17wvSplitKQ_hf_sml_I6__halfhLi64ELi2ELi16ELi16ELi2ELi1EEEviiiPKT0_S4_PT_PKfS8_ii, 298

	.type	__PRETTY_FUNCTION__._ZN5aiter13wvSplitKQ_hf_I6__halfhLi64ELi2ELi16ELi16ELi2ELi1EEEviiiPKT0_S4_PT_PKfS8_ii,@object ; @__PRETTY_FUNCTION__._ZN5aiter13wvSplitKQ_hf_I6__halfhLi64ELi2ELi16ELi16ELi2ELi1EEEviiiPKT0_S4_PT_PKfS8_ii
__PRETTY_FUNCTION__._ZN5aiter13wvSplitKQ_hf_I6__halfhLi64ELi2ELi16ELi16ELi2ELi1EEEviiiPKT0_S4_PT_PKfS8_ii:
	.asciz	"void aiter::wvSplitKQ_hf_(const int, const int, const int, const fp8_t *, const fp8_t *__restrict, scalar_t *, const float *__restrict, const float *__restrict, const int, const int) [scalar_t = __half, fp8_t = unsigned char, THRDS = 64, YTILE = 2, WvPrGrp = 16, A_CHUNK = 16, UNRL = 2, N = 1]"
	.size	__PRETTY_FUNCTION__._ZN5aiter13wvSplitKQ_hf_I6__halfhLi64ELi2ELi16ELi16ELi2ELi1EEEviiiPKT0_S4_PT_PKfS8_ii, 294

	.type	__PRETTY_FUNCTION__._ZN5aiter17wvSplitKQ_hf_sml_I6__halfhLi64ELi2ELi16ELi16ELi2ELi2EEEviiiPKT0_S4_PT_PKfS8_ii,@object ; @__PRETTY_FUNCTION__._ZN5aiter17wvSplitKQ_hf_sml_I6__halfhLi64ELi2ELi16ELi16ELi2ELi2EEEviiiPKT0_S4_PT_PKfS8_ii
__PRETTY_FUNCTION__._ZN5aiter17wvSplitKQ_hf_sml_I6__halfhLi64ELi2ELi16ELi16ELi2ELi2EEEviiiPKT0_S4_PT_PKfS8_ii:
	.asciz	"void aiter::wvSplitKQ_hf_sml_(const int, const int, const int, const fp8_t *, const fp8_t *__restrict, scalar_t *, const float *__restrict, const float *__restrict, const int, const int) [scalar_t = __half, fp8_t = unsigned char, THRDS = 64, YTILE = 2, WvPrGrp = 16, A_CHUNK = 16, UNRL = 2, N = 2]"
	.size	__PRETTY_FUNCTION__._ZN5aiter17wvSplitKQ_hf_sml_I6__halfhLi64ELi2ELi16ELi16ELi2ELi2EEEviiiPKT0_S4_PT_PKfS8_ii, 298

	.type	__PRETTY_FUNCTION__._ZN5aiter13wvSplitKQ_hf_I6__halfhLi64ELi2ELi16ELi16ELi2ELi2EEEviiiPKT0_S4_PT_PKfS8_ii,@object ; @__PRETTY_FUNCTION__._ZN5aiter13wvSplitKQ_hf_I6__halfhLi64ELi2ELi16ELi16ELi2ELi2EEEviiiPKT0_S4_PT_PKfS8_ii
__PRETTY_FUNCTION__._ZN5aiter13wvSplitKQ_hf_I6__halfhLi64ELi2ELi16ELi16ELi2ELi2EEEviiiPKT0_S4_PT_PKfS8_ii:
	.asciz	"void aiter::wvSplitKQ_hf_(const int, const int, const int, const fp8_t *, const fp8_t *__restrict, scalar_t *, const float *__restrict, const float *__restrict, const int, const int) [scalar_t = __half, fp8_t = unsigned char, THRDS = 64, YTILE = 2, WvPrGrp = 16, A_CHUNK = 16, UNRL = 2, N = 2]"
	.size	__PRETTY_FUNCTION__._ZN5aiter13wvSplitKQ_hf_I6__halfhLi64ELi2ELi16ELi16ELi2ELi2EEEviiiPKT0_S4_PT_PKfS8_ii, 294

	.type	__PRETTY_FUNCTION__._ZN5aiter17wvSplitKQ_hf_sml_I6__halfhLi64ELi4ELi16ELi16ELi1ELi3EEEviiiPKT0_S4_PT_PKfS8_ii,@object ; @__PRETTY_FUNCTION__._ZN5aiter17wvSplitKQ_hf_sml_I6__halfhLi64ELi4ELi16ELi16ELi1ELi3EEEviiiPKT0_S4_PT_PKfS8_ii
__PRETTY_FUNCTION__._ZN5aiter17wvSplitKQ_hf_sml_I6__halfhLi64ELi4ELi16ELi16ELi1ELi3EEEviiiPKT0_S4_PT_PKfS8_ii:
	.asciz	"void aiter::wvSplitKQ_hf_sml_(const int, const int, const int, const fp8_t *, const fp8_t *__restrict, scalar_t *, const float *__restrict, const float *__restrict, const int, const int) [scalar_t = __half, fp8_t = unsigned char, THRDS = 64, YTILE = 4, WvPrGrp = 16, A_CHUNK = 16, UNRL = 1, N = 3]"
	.size	__PRETTY_FUNCTION__._ZN5aiter17wvSplitKQ_hf_sml_I6__halfhLi64ELi4ELi16ELi16ELi1ELi3EEEviiiPKT0_S4_PT_PKfS8_ii, 298

	.type	__PRETTY_FUNCTION__._ZN5aiter13wvSplitKQ_hf_I6__halfhLi64ELi7ELi16ELi16ELi1ELi3EEEviiiPKT0_S4_PT_PKfS8_ii,@object ; @__PRETTY_FUNCTION__._ZN5aiter13wvSplitKQ_hf_I6__halfhLi64ELi7ELi16ELi16ELi1ELi3EEEviiiPKT0_S4_PT_PKfS8_ii
__PRETTY_FUNCTION__._ZN5aiter13wvSplitKQ_hf_I6__halfhLi64ELi7ELi16ELi16ELi1ELi3EEEviiiPKT0_S4_PT_PKfS8_ii:
	.asciz	"void aiter::wvSplitKQ_hf_(const int, const int, const int, const fp8_t *, const fp8_t *__restrict, scalar_t *, const float *__restrict, const float *__restrict, const int, const int) [scalar_t = __half, fp8_t = unsigned char, THRDS = 64, YTILE = 7, WvPrGrp = 16, A_CHUNK = 16, UNRL = 1, N = 3]"
	.size	__PRETTY_FUNCTION__._ZN5aiter13wvSplitKQ_hf_I6__halfhLi64ELi7ELi16ELi16ELi1ELi3EEEviiiPKT0_S4_PT_PKfS8_ii, 294

	.type	__PRETTY_FUNCTION__._ZN5aiter17wvSplitKQ_hf_sml_I6__halfhLi64ELi4ELi16ELi16ELi1ELi4EEEviiiPKT0_S4_PT_PKfS8_ii,@object ; @__PRETTY_FUNCTION__._ZN5aiter17wvSplitKQ_hf_sml_I6__halfhLi64ELi4ELi16ELi16ELi1ELi4EEEviiiPKT0_S4_PT_PKfS8_ii
__PRETTY_FUNCTION__._ZN5aiter17wvSplitKQ_hf_sml_I6__halfhLi64ELi4ELi16ELi16ELi1ELi4EEEviiiPKT0_S4_PT_PKfS8_ii:
	.asciz	"void aiter::wvSplitKQ_hf_sml_(const int, const int, const int, const fp8_t *, const fp8_t *__restrict, scalar_t *, const float *__restrict, const float *__restrict, const int, const int) [scalar_t = __half, fp8_t = unsigned char, THRDS = 64, YTILE = 4, WvPrGrp = 16, A_CHUNK = 16, UNRL = 1, N = 4]"
	.size	__PRETTY_FUNCTION__._ZN5aiter17wvSplitKQ_hf_sml_I6__halfhLi64ELi4ELi16ELi16ELi1ELi4EEEviiiPKT0_S4_PT_PKfS8_ii, 298

	.type	__PRETTY_FUNCTION__._ZN5aiter13wvSplitKQ_hf_I6__halfhLi64ELi7ELi16ELi16ELi1ELi4EEEviiiPKT0_S4_PT_PKfS8_ii,@object ; @__PRETTY_FUNCTION__._ZN5aiter13wvSplitKQ_hf_I6__halfhLi64ELi7ELi16ELi16ELi1ELi4EEEviiiPKT0_S4_PT_PKfS8_ii
__PRETTY_FUNCTION__._ZN5aiter13wvSplitKQ_hf_I6__halfhLi64ELi7ELi16ELi16ELi1ELi4EEEviiiPKT0_S4_PT_PKfS8_ii:
	.asciz	"void aiter::wvSplitKQ_hf_(const int, const int, const int, const fp8_t *, const fp8_t *__restrict, scalar_t *, const float *__restrict, const float *__restrict, const int, const int) [scalar_t = __half, fp8_t = unsigned char, THRDS = 64, YTILE = 7, WvPrGrp = 16, A_CHUNK = 16, UNRL = 1, N = 4]"
	.size	__PRETTY_FUNCTION__._ZN5aiter13wvSplitKQ_hf_I6__halfhLi64ELi7ELi16ELi16ELi1ELi4EEEviiiPKT0_S4_PT_PKfS8_ii, 294

	.type	__PRETTY_FUNCTION__._ZN5aiter17wvSplitKQ_hf_sml_I14__hip_bfloat16hLi64ELi2ELi16ELi16ELi2ELi1EEEviiiPKT0_S4_PT_PKfS8_ii,@object ; @__PRETTY_FUNCTION__._ZN5aiter17wvSplitKQ_hf_sml_I14__hip_bfloat16hLi64ELi2ELi16ELi16ELi2ELi1EEEviiiPKT0_S4_PT_PKfS8_ii
__PRETTY_FUNCTION__._ZN5aiter17wvSplitKQ_hf_sml_I14__hip_bfloat16hLi64ELi2ELi16ELi16ELi2ELi1EEEviiiPKT0_S4_PT_PKfS8_ii:
	.asciz	"void aiter::wvSplitKQ_hf_sml_(const int, const int, const int, const fp8_t *, const fp8_t *__restrict, scalar_t *, const float *__restrict, const float *__restrict, const int, const int) [scalar_t = __hip_bfloat16, fp8_t = unsigned char, THRDS = 64, YTILE = 2, WvPrGrp = 16, A_CHUNK = 16, UNRL = 2, N = 1]"
	.size	__PRETTY_FUNCTION__._ZN5aiter17wvSplitKQ_hf_sml_I14__hip_bfloat16hLi64ELi2ELi16ELi16ELi2ELi1EEEviiiPKT0_S4_PT_PKfS8_ii, 306

	.type	__PRETTY_FUNCTION__._ZN5aiter13wvSplitKQ_hf_I14__hip_bfloat16hLi64ELi2ELi16ELi16ELi2ELi1EEEviiiPKT0_S4_PT_PKfS8_ii,@object ; @__PRETTY_FUNCTION__._ZN5aiter13wvSplitKQ_hf_I14__hip_bfloat16hLi64ELi2ELi16ELi16ELi2ELi1EEEviiiPKT0_S4_PT_PKfS8_ii
__PRETTY_FUNCTION__._ZN5aiter13wvSplitKQ_hf_I14__hip_bfloat16hLi64ELi2ELi16ELi16ELi2ELi1EEEviiiPKT0_S4_PT_PKfS8_ii:
	.asciz	"void aiter::wvSplitKQ_hf_(const int, const int, const int, const fp8_t *, const fp8_t *__restrict, scalar_t *, const float *__restrict, const float *__restrict, const int, const int) [scalar_t = __hip_bfloat16, fp8_t = unsigned char, THRDS = 64, YTILE = 2, WvPrGrp = 16, A_CHUNK = 16, UNRL = 2, N = 1]"
	.size	__PRETTY_FUNCTION__._ZN5aiter13wvSplitKQ_hf_I14__hip_bfloat16hLi64ELi2ELi16ELi16ELi2ELi1EEEviiiPKT0_S4_PT_PKfS8_ii, 302

	.type	__PRETTY_FUNCTION__._ZN5aiter17wvSplitKQ_hf_sml_I14__hip_bfloat16hLi64ELi2ELi16ELi16ELi2ELi2EEEviiiPKT0_S4_PT_PKfS8_ii,@object ; @__PRETTY_FUNCTION__._ZN5aiter17wvSplitKQ_hf_sml_I14__hip_bfloat16hLi64ELi2ELi16ELi16ELi2ELi2EEEviiiPKT0_S4_PT_PKfS8_ii
__PRETTY_FUNCTION__._ZN5aiter17wvSplitKQ_hf_sml_I14__hip_bfloat16hLi64ELi2ELi16ELi16ELi2ELi2EEEviiiPKT0_S4_PT_PKfS8_ii:
	.asciz	"void aiter::wvSplitKQ_hf_sml_(const int, const int, const int, const fp8_t *, const fp8_t *__restrict, scalar_t *, const float *__restrict, const float *__restrict, const int, const int) [scalar_t = __hip_bfloat16, fp8_t = unsigned char, THRDS = 64, YTILE = 2, WvPrGrp = 16, A_CHUNK = 16, UNRL = 2, N = 2]"
	.size	__PRETTY_FUNCTION__._ZN5aiter17wvSplitKQ_hf_sml_I14__hip_bfloat16hLi64ELi2ELi16ELi16ELi2ELi2EEEviiiPKT0_S4_PT_PKfS8_ii, 306

	.type	__PRETTY_FUNCTION__._ZN5aiter13wvSplitKQ_hf_I14__hip_bfloat16hLi64ELi2ELi16ELi16ELi2ELi2EEEviiiPKT0_S4_PT_PKfS8_ii,@object ; @__PRETTY_FUNCTION__._ZN5aiter13wvSplitKQ_hf_I14__hip_bfloat16hLi64ELi2ELi16ELi16ELi2ELi2EEEviiiPKT0_S4_PT_PKfS8_ii
__PRETTY_FUNCTION__._ZN5aiter13wvSplitKQ_hf_I14__hip_bfloat16hLi64ELi2ELi16ELi16ELi2ELi2EEEviiiPKT0_S4_PT_PKfS8_ii:
	.asciz	"void aiter::wvSplitKQ_hf_(const int, const int, const int, const fp8_t *, const fp8_t *__restrict, scalar_t *, const float *__restrict, const float *__restrict, const int, const int) [scalar_t = __hip_bfloat16, fp8_t = unsigned char, THRDS = 64, YTILE = 2, WvPrGrp = 16, A_CHUNK = 16, UNRL = 2, N = 2]"
	.size	__PRETTY_FUNCTION__._ZN5aiter13wvSplitKQ_hf_I14__hip_bfloat16hLi64ELi2ELi16ELi16ELi2ELi2EEEviiiPKT0_S4_PT_PKfS8_ii, 302

	.type	__PRETTY_FUNCTION__._ZN5aiter17wvSplitKQ_hf_sml_I14__hip_bfloat16hLi64ELi4ELi16ELi16ELi1ELi3EEEviiiPKT0_S4_PT_PKfS8_ii,@object ; @__PRETTY_FUNCTION__._ZN5aiter17wvSplitKQ_hf_sml_I14__hip_bfloat16hLi64ELi4ELi16ELi16ELi1ELi3EEEviiiPKT0_S4_PT_PKfS8_ii
__PRETTY_FUNCTION__._ZN5aiter17wvSplitKQ_hf_sml_I14__hip_bfloat16hLi64ELi4ELi16ELi16ELi1ELi3EEEviiiPKT0_S4_PT_PKfS8_ii:
	.asciz	"void aiter::wvSplitKQ_hf_sml_(const int, const int, const int, const fp8_t *, const fp8_t *__restrict, scalar_t *, const float *__restrict, const float *__restrict, const int, const int) [scalar_t = __hip_bfloat16, fp8_t = unsigned char, THRDS = 64, YTILE = 4, WvPrGrp = 16, A_CHUNK = 16, UNRL = 1, N = 3]"
	.size	__PRETTY_FUNCTION__._ZN5aiter17wvSplitKQ_hf_sml_I14__hip_bfloat16hLi64ELi4ELi16ELi16ELi1ELi3EEEviiiPKT0_S4_PT_PKfS8_ii, 306

	.type	__PRETTY_FUNCTION__._ZN5aiter13wvSplitKQ_hf_I14__hip_bfloat16hLi64ELi7ELi16ELi16ELi1ELi3EEEviiiPKT0_S4_PT_PKfS8_ii,@object ; @__PRETTY_FUNCTION__._ZN5aiter13wvSplitKQ_hf_I14__hip_bfloat16hLi64ELi7ELi16ELi16ELi1ELi3EEEviiiPKT0_S4_PT_PKfS8_ii
__PRETTY_FUNCTION__._ZN5aiter13wvSplitKQ_hf_I14__hip_bfloat16hLi64ELi7ELi16ELi16ELi1ELi3EEEviiiPKT0_S4_PT_PKfS8_ii:
	.asciz	"void aiter::wvSplitKQ_hf_(const int, const int, const int, const fp8_t *, const fp8_t *__restrict, scalar_t *, const float *__restrict, const float *__restrict, const int, const int) [scalar_t = __hip_bfloat16, fp8_t = unsigned char, THRDS = 64, YTILE = 7, WvPrGrp = 16, A_CHUNK = 16, UNRL = 1, N = 3]"
	.size	__PRETTY_FUNCTION__._ZN5aiter13wvSplitKQ_hf_I14__hip_bfloat16hLi64ELi7ELi16ELi16ELi1ELi3EEEviiiPKT0_S4_PT_PKfS8_ii, 302

	.type	__PRETTY_FUNCTION__._ZN5aiter17wvSplitKQ_hf_sml_I14__hip_bfloat16hLi64ELi4ELi16ELi16ELi1ELi4EEEviiiPKT0_S4_PT_PKfS8_ii,@object ; @__PRETTY_FUNCTION__._ZN5aiter17wvSplitKQ_hf_sml_I14__hip_bfloat16hLi64ELi4ELi16ELi16ELi1ELi4EEEviiiPKT0_S4_PT_PKfS8_ii
__PRETTY_FUNCTION__._ZN5aiter17wvSplitKQ_hf_sml_I14__hip_bfloat16hLi64ELi4ELi16ELi16ELi1ELi4EEEviiiPKT0_S4_PT_PKfS8_ii:
	.asciz	"void aiter::wvSplitKQ_hf_sml_(const int, const int, const int, const fp8_t *, const fp8_t *__restrict, scalar_t *, const float *__restrict, const float *__restrict, const int, const int) [scalar_t = __hip_bfloat16, fp8_t = unsigned char, THRDS = 64, YTILE = 4, WvPrGrp = 16, A_CHUNK = 16, UNRL = 1, N = 4]"
	.size	__PRETTY_FUNCTION__._ZN5aiter17wvSplitKQ_hf_sml_I14__hip_bfloat16hLi64ELi4ELi16ELi16ELi1ELi4EEEviiiPKT0_S4_PT_PKfS8_ii, 306

	.type	__PRETTY_FUNCTION__._ZN5aiter13wvSplitKQ_hf_I14__hip_bfloat16hLi64ELi7ELi16ELi16ELi1ELi4EEEviiiPKT0_S4_PT_PKfS8_ii,@object ; @__PRETTY_FUNCTION__._ZN5aiter13wvSplitKQ_hf_I14__hip_bfloat16hLi64ELi7ELi16ELi16ELi1ELi4EEEviiiPKT0_S4_PT_PKfS8_ii
__PRETTY_FUNCTION__._ZN5aiter13wvSplitKQ_hf_I14__hip_bfloat16hLi64ELi7ELi16ELi16ELi1ELi4EEEviiiPKT0_S4_PT_PKfS8_ii:
	.asciz	"void aiter::wvSplitKQ_hf_(const int, const int, const int, const fp8_t *, const fp8_t *__restrict, scalar_t *, const float *__restrict, const float *__restrict, const int, const int) [scalar_t = __hip_bfloat16, fp8_t = unsigned char, THRDS = 64, YTILE = 7, WvPrGrp = 16, A_CHUNK = 16, UNRL = 1, N = 4]"
	.size	__PRETTY_FUNCTION__._ZN5aiter13wvSplitKQ_hf_I14__hip_bfloat16hLi64ELi7ELi16ELi16ELi1ELi4EEEviiiPKT0_S4_PT_PKfS8_ii, 302

	.type	__hip_cuid_4af6e90db998c32f,@object ; @__hip_cuid_4af6e90db998c32f
	.section	.bss,"aw",@nobits
	.globl	__hip_cuid_4af6e90db998c32f
__hip_cuid_4af6e90db998c32f:
	.byte	0                               ; 0x0
	.size	__hip_cuid_4af6e90db998c32f, 1

	.ident	"AMD clang version 19.0.0git (https://github.com/RadeonOpenCompute/llvm-project roc-6.4.0 25133 c7fe45cf4b819c5991fe208aaa96edf142730f1d)"
	.section	".note.GNU-stack","",@progbits
	.addrsig
	.addrsig_sym __hip_cuid_4af6e90db998c32f
	.amdgpu_metadata
---
amdhsa.kernels:
  - .args:           []
    .group_segment_fixed_size: 0
    .kernarg_segment_align: 4
    .kernarg_segment_size: 0
    .language:       OpenCL C
    .language_version:
      - 2
      - 0
    .max_flat_workgroup_size: 1024
    .name:           _ZN7ck_tileL11flush_cacheEv
    .private_segment_fixed_size: 0
    .sgpr_count:     0
    .sgpr_spill_count: 0
    .symbol:         _ZN7ck_tileL11flush_cacheEv.kd
    .uniform_work_group_size: 1
    .uses_dynamic_stack: false
    .vgpr_count:     0
    .vgpr_spill_count: 0
    .wavefront_size: 32
    .workgroup_processor_mode: 1
  - .args:
      - .address_space:  global
        .offset:         0
        .size:           8
        .value_kind:     global_buffer
      - .address_space:  global
        .offset:         8
        .size:           8
        .value_kind:     global_buffer
      - .address_space:  global
        .offset:         16
        .size:           8
        .value_kind:     global_buffer
      - .offset:         24
        .size:           4
        .value_kind:     by_value
      - .offset:         28
        .size:           4
        .value_kind:     by_value
      - .offset:         32
        .size:           4
        .value_kind:     by_value
      - .offset:         36
        .size:           4
        .value_kind:     by_value
      - .offset:         40
        .size:           4
        .value_kind:     by_value
      - .offset:         44
        .size:           4
        .value_kind:     by_value
      - .offset:         48
        .size:           4
        .value_kind:     hidden_block_count_x
      - .offset:         52
        .size:           4
        .value_kind:     hidden_block_count_y
      - .offset:         56
        .size:           4
        .value_kind:     hidden_block_count_z
      - .offset:         60
        .size:           2
        .value_kind:     hidden_group_size_x
      - .offset:         62
        .size:           2
        .value_kind:     hidden_group_size_y
      - .offset:         64
        .size:           2
        .value_kind:     hidden_group_size_z
      - .offset:         66
        .size:           2
        .value_kind:     hidden_remainder_x
      - .offset:         68
        .size:           2
        .value_kind:     hidden_remainder_y
      - .offset:         70
        .size:           2
        .value_kind:     hidden_remainder_z
      - .offset:         88
        .size:           8
        .value_kind:     hidden_global_offset_x
      - .offset:         96
        .size:           8
        .value_kind:     hidden_global_offset_y
      - .offset:         104
        .size:           8
        .value_kind:     hidden_global_offset_z
      - .offset:         112
        .size:           2
        .value_kind:     hidden_grid_dims
    .group_segment_fixed_size: 8192
    .kernarg_segment_align: 8
    .kernarg_segment_size: 304
    .language:       OpenCL C
    .language_version:
      - 2
      - 0
    .max_flat_workgroup_size: 1024
    .name:           _ZN5aiter20matrixMultiplySharedEPfS0_S0_iiiiii
    .private_segment_fixed_size: 0
    .sgpr_count:     19
    .sgpr_spill_count: 0
    .symbol:         _ZN5aiter20matrixMultiplySharedEPfS0_S0_iiiiii.kd
    .uniform_work_group_size: 1
    .uses_dynamic_stack: false
    .vgpr_count:     31
    .vgpr_spill_count: 0
    .wavefront_size: 32
    .workgroup_processor_mode: 1
  - .args:
      - .address_space:  global
        .offset:         0
        .size:           8
        .value_kind:     global_buffer
      - .address_space:  global
        .offset:         8
        .size:           8
        .value_kind:     global_buffer
      - .address_space:  global
        .offset:         16
        .size:           8
        .value_kind:     global_buffer
      - .offset:         24
        .size:           4
        .value_kind:     by_value
      - .offset:         32
        .size:           4
        .value_kind:     hidden_block_count_x
      - .offset:         36
        .size:           4
        .value_kind:     hidden_block_count_y
      - .offset:         40
        .size:           4
        .value_kind:     hidden_block_count_z
      - .offset:         44
        .size:           2
        .value_kind:     hidden_group_size_x
      - .offset:         46
        .size:           2
        .value_kind:     hidden_group_size_y
      - .offset:         48
        .size:           2
        .value_kind:     hidden_group_size_z
      - .offset:         50
        .size:           2
        .value_kind:     hidden_remainder_x
      - .offset:         52
        .size:           2
        .value_kind:     hidden_remainder_y
      - .offset:         54
        .size:           2
        .value_kind:     hidden_remainder_z
      - .offset:         72
        .size:           8
        .value_kind:     hidden_global_offset_x
      - .offset:         80
        .size:           8
        .value_kind:     hidden_global_offset_y
      - .offset:         88
        .size:           8
        .value_kind:     hidden_global_offset_z
      - .offset:         96
        .size:           2
        .value_kind:     hidden_grid_dims
    .group_segment_fixed_size: 256
    .kernarg_segment_align: 8
    .kernarg_segment_size: 288
    .language:       OpenCL C
    .language_version:
      - 2
      - 0
    .max_flat_workgroup_size: 1024
    .name:           _ZN5aiter14LLGemm1_kernelI6__halfLi2EEEvPKT_S4_PS2_i
    .private_segment_fixed_size: 0
    .sgpr_count:     18
    .sgpr_spill_count: 0
    .symbol:         _ZN5aiter14LLGemm1_kernelI6__halfLi2EEEvPKT_S4_PS2_i.kd
    .uniform_work_group_size: 1
    .uses_dynamic_stack: false
    .vgpr_count:     16
    .vgpr_spill_count: 0
    .wavefront_size: 32
    .workgroup_processor_mode: 1
  - .args:
      - .address_space:  global
        .offset:         0
        .size:           8
        .value_kind:     global_buffer
      - .address_space:  global
        .offset:         8
        .size:           8
        .value_kind:     global_buffer
      - .address_space:  global
        .offset:         16
        .size:           8
        .value_kind:     global_buffer
      - .offset:         24
        .size:           4
        .value_kind:     by_value
      - .offset:         32
        .size:           4
        .value_kind:     hidden_block_count_x
      - .offset:         36
        .size:           4
        .value_kind:     hidden_block_count_y
      - .offset:         40
        .size:           4
        .value_kind:     hidden_block_count_z
      - .offset:         44
        .size:           2
        .value_kind:     hidden_group_size_x
      - .offset:         46
        .size:           2
        .value_kind:     hidden_group_size_y
      - .offset:         48
        .size:           2
        .value_kind:     hidden_group_size_z
      - .offset:         50
        .size:           2
        .value_kind:     hidden_remainder_x
      - .offset:         52
        .size:           2
        .value_kind:     hidden_remainder_y
      - .offset:         54
        .size:           2
        .value_kind:     hidden_remainder_z
      - .offset:         72
        .size:           8
        .value_kind:     hidden_global_offset_x
      - .offset:         80
        .size:           8
        .value_kind:     hidden_global_offset_y
      - .offset:         88
        .size:           8
        .value_kind:     hidden_global_offset_z
      - .offset:         96
        .size:           2
        .value_kind:     hidden_grid_dims
    .group_segment_fixed_size: 512
    .kernarg_segment_align: 8
    .kernarg_segment_size: 288
    .language:       OpenCL C
    .language_version:
      - 2
      - 0
    .max_flat_workgroup_size: 1024
    .name:           _ZN5aiter14LLGemm1_kernelI6__halfLi4EEEvPKT_S4_PS2_i
    .private_segment_fixed_size: 0
    .sgpr_count:     18
    .sgpr_spill_count: 0
    .symbol:         _ZN5aiter14LLGemm1_kernelI6__halfLi4EEEvPKT_S4_PS2_i.kd
    .uniform_work_group_size: 1
    .uses_dynamic_stack: false
    .vgpr_count:     28
    .vgpr_spill_count: 0
    .wavefront_size: 32
    .workgroup_processor_mode: 1
  - .args:
      - .address_space:  global
        .offset:         0
        .size:           8
        .value_kind:     global_buffer
      - .address_space:  global
        .offset:         8
        .size:           8
        .value_kind:     global_buffer
      - .address_space:  global
        .offset:         16
        .size:           8
        .value_kind:     global_buffer
      - .offset:         24
        .size:           4
        .value_kind:     by_value
      - .offset:         32
        .size:           4
        .value_kind:     hidden_block_count_x
      - .offset:         36
        .size:           4
        .value_kind:     hidden_block_count_y
      - .offset:         40
        .size:           4
        .value_kind:     hidden_block_count_z
      - .offset:         44
        .size:           2
        .value_kind:     hidden_group_size_x
      - .offset:         46
        .size:           2
        .value_kind:     hidden_group_size_y
      - .offset:         48
        .size:           2
        .value_kind:     hidden_group_size_z
      - .offset:         50
        .size:           2
        .value_kind:     hidden_remainder_x
      - .offset:         52
        .size:           2
        .value_kind:     hidden_remainder_y
      - .offset:         54
        .size:           2
        .value_kind:     hidden_remainder_z
      - .offset:         72
        .size:           8
        .value_kind:     hidden_global_offset_x
      - .offset:         80
        .size:           8
        .value_kind:     hidden_global_offset_y
      - .offset:         88
        .size:           8
        .value_kind:     hidden_global_offset_z
      - .offset:         96
        .size:           2
        .value_kind:     hidden_grid_dims
    .group_segment_fixed_size: 1024
    .kernarg_segment_align: 8
    .kernarg_segment_size: 288
    .language:       OpenCL C
    .language_version:
      - 2
      - 0
    .max_flat_workgroup_size: 1024
    .name:           _ZN5aiter14LLGemm1_kernelI6__halfLi8EEEvPKT_S4_PS2_i
    .private_segment_fixed_size: 0
    .sgpr_count:     18
    .sgpr_spill_count: 0
    .symbol:         _ZN5aiter14LLGemm1_kernelI6__halfLi8EEEvPKT_S4_PS2_i.kd
    .uniform_work_group_size: 1
    .uses_dynamic_stack: false
    .vgpr_count:     48
    .vgpr_spill_count: 0
    .wavefront_size: 32
    .workgroup_processor_mode: 1
  - .args:
      - .address_space:  global
        .offset:         0
        .size:           8
        .value_kind:     global_buffer
      - .address_space:  global
        .offset:         8
        .size:           8
        .value_kind:     global_buffer
      - .address_space:  global
        .offset:         16
        .size:           8
        .value_kind:     global_buffer
      - .offset:         24
        .size:           4
        .value_kind:     by_value
      - .offset:         32
        .size:           4
        .value_kind:     hidden_block_count_x
      - .offset:         36
        .size:           4
        .value_kind:     hidden_block_count_y
      - .offset:         40
        .size:           4
        .value_kind:     hidden_block_count_z
      - .offset:         44
        .size:           2
        .value_kind:     hidden_group_size_x
      - .offset:         46
        .size:           2
        .value_kind:     hidden_group_size_y
      - .offset:         48
        .size:           2
        .value_kind:     hidden_group_size_z
      - .offset:         50
        .size:           2
        .value_kind:     hidden_remainder_x
      - .offset:         52
        .size:           2
        .value_kind:     hidden_remainder_y
      - .offset:         54
        .size:           2
        .value_kind:     hidden_remainder_z
      - .offset:         72
        .size:           8
        .value_kind:     hidden_global_offset_x
      - .offset:         80
        .size:           8
        .value_kind:     hidden_global_offset_y
      - .offset:         88
        .size:           8
        .value_kind:     hidden_global_offset_z
      - .offset:         96
        .size:           2
        .value_kind:     hidden_grid_dims
    .group_segment_fixed_size: 2048
    .kernarg_segment_align: 8
    .kernarg_segment_size: 288
    .language:       OpenCL C
    .language_version:
      - 2
      - 0
    .max_flat_workgroup_size: 1024
    .name:           _ZN5aiter14LLGemm1_kernelI6__halfLi16EEEvPKT_S4_PS2_i
    .private_segment_fixed_size: 0
    .sgpr_count:     21
    .sgpr_spill_count: 0
    .symbol:         _ZN5aiter14LLGemm1_kernelI6__halfLi16EEEvPKT_S4_PS2_i.kd
    .uniform_work_group_size: 1
    .uses_dynamic_stack: false
    .vgpr_count:     79
    .vgpr_spill_count: 0
    .wavefront_size: 32
    .workgroup_processor_mode: 1
  - .args:
      - .address_space:  global
        .offset:         0
        .size:           8
        .value_kind:     global_buffer
      - .address_space:  global
        .offset:         8
        .size:           8
        .value_kind:     global_buffer
      - .address_space:  global
        .offset:         16
        .size:           8
        .value_kind:     global_buffer
      - .offset:         24
        .size:           4
        .value_kind:     by_value
      - .offset:         32
        .size:           4
        .value_kind:     hidden_block_count_x
      - .offset:         36
        .size:           4
        .value_kind:     hidden_block_count_y
      - .offset:         40
        .size:           4
        .value_kind:     hidden_block_count_z
      - .offset:         44
        .size:           2
        .value_kind:     hidden_group_size_x
      - .offset:         46
        .size:           2
        .value_kind:     hidden_group_size_y
      - .offset:         48
        .size:           2
        .value_kind:     hidden_group_size_z
      - .offset:         50
        .size:           2
        .value_kind:     hidden_remainder_x
      - .offset:         52
        .size:           2
        .value_kind:     hidden_remainder_y
      - .offset:         54
        .size:           2
        .value_kind:     hidden_remainder_z
      - .offset:         72
        .size:           8
        .value_kind:     hidden_global_offset_x
      - .offset:         80
        .size:           8
        .value_kind:     hidden_global_offset_y
      - .offset:         88
        .size:           8
        .value_kind:     hidden_global_offset_z
      - .offset:         96
        .size:           2
        .value_kind:     hidden_grid_dims
    .group_segment_fixed_size: 256
    .kernarg_segment_align: 8
    .kernarg_segment_size: 288
    .language:       OpenCL C
    .language_version:
      - 2
      - 0
    .max_flat_workgroup_size: 1024
    .name:           _ZN5aiter14LLGemm1_kernelI12hip_bfloat16Li2EEEvPKT_S4_PS2_i
    .private_segment_fixed_size: 0
    .sgpr_count:     18
    .sgpr_spill_count: 0
    .symbol:         _ZN5aiter14LLGemm1_kernelI12hip_bfloat16Li2EEEvPKT_S4_PS2_i.kd
    .uniform_work_group_size: 1
    .uses_dynamic_stack: false
    .vgpr_count:     25
    .vgpr_spill_count: 0
    .wavefront_size: 32
    .workgroup_processor_mode: 1
  - .args:
      - .address_space:  global
        .offset:         0
        .size:           8
        .value_kind:     global_buffer
      - .address_space:  global
        .offset:         8
        .size:           8
        .value_kind:     global_buffer
      - .address_space:  global
        .offset:         16
        .size:           8
        .value_kind:     global_buffer
      - .offset:         24
        .size:           4
        .value_kind:     by_value
      - .offset:         32
        .size:           4
        .value_kind:     hidden_block_count_x
      - .offset:         36
        .size:           4
        .value_kind:     hidden_block_count_y
      - .offset:         40
        .size:           4
        .value_kind:     hidden_block_count_z
      - .offset:         44
        .size:           2
        .value_kind:     hidden_group_size_x
      - .offset:         46
        .size:           2
        .value_kind:     hidden_group_size_y
      - .offset:         48
        .size:           2
        .value_kind:     hidden_group_size_z
      - .offset:         50
        .size:           2
        .value_kind:     hidden_remainder_x
      - .offset:         52
        .size:           2
        .value_kind:     hidden_remainder_y
      - .offset:         54
        .size:           2
        .value_kind:     hidden_remainder_z
      - .offset:         72
        .size:           8
        .value_kind:     hidden_global_offset_x
      - .offset:         80
        .size:           8
        .value_kind:     hidden_global_offset_y
      - .offset:         88
        .size:           8
        .value_kind:     hidden_global_offset_z
      - .offset:         96
        .size:           2
        .value_kind:     hidden_grid_dims
    .group_segment_fixed_size: 512
    .kernarg_segment_align: 8
    .kernarg_segment_size: 288
    .language:       OpenCL C
    .language_version:
      - 2
      - 0
    .max_flat_workgroup_size: 1024
    .name:           _ZN5aiter14LLGemm1_kernelI12hip_bfloat16Li4EEEvPKT_S4_PS2_i
    .private_segment_fixed_size: 0
    .sgpr_count:     18
    .sgpr_spill_count: 0
    .symbol:         _ZN5aiter14LLGemm1_kernelI12hip_bfloat16Li4EEEvPKT_S4_PS2_i.kd
    .uniform_work_group_size: 1
    .uses_dynamic_stack: false
    .vgpr_count:     43
    .vgpr_spill_count: 0
    .wavefront_size: 32
    .workgroup_processor_mode: 1
  - .args:
      - .address_space:  global
        .offset:         0
        .size:           8
        .value_kind:     global_buffer
      - .address_space:  global
        .offset:         8
        .size:           8
        .value_kind:     global_buffer
      - .address_space:  global
        .offset:         16
        .size:           8
        .value_kind:     global_buffer
      - .offset:         24
        .size:           4
        .value_kind:     by_value
      - .offset:         32
        .size:           4
        .value_kind:     hidden_block_count_x
      - .offset:         36
        .size:           4
        .value_kind:     hidden_block_count_y
      - .offset:         40
        .size:           4
        .value_kind:     hidden_block_count_z
      - .offset:         44
        .size:           2
        .value_kind:     hidden_group_size_x
      - .offset:         46
        .size:           2
        .value_kind:     hidden_group_size_y
      - .offset:         48
        .size:           2
        .value_kind:     hidden_group_size_z
      - .offset:         50
        .size:           2
        .value_kind:     hidden_remainder_x
      - .offset:         52
        .size:           2
        .value_kind:     hidden_remainder_y
      - .offset:         54
        .size:           2
        .value_kind:     hidden_remainder_z
      - .offset:         72
        .size:           8
        .value_kind:     hidden_global_offset_x
      - .offset:         80
        .size:           8
        .value_kind:     hidden_global_offset_y
      - .offset:         88
        .size:           8
        .value_kind:     hidden_global_offset_z
      - .offset:         96
        .size:           2
        .value_kind:     hidden_grid_dims
    .group_segment_fixed_size: 1024
    .kernarg_segment_align: 8
    .kernarg_segment_size: 288
    .language:       OpenCL C
    .language_version:
      - 2
      - 0
    .max_flat_workgroup_size: 1024
    .name:           _ZN5aiter14LLGemm1_kernelI12hip_bfloat16Li8EEEvPKT_S4_PS2_i
    .private_segment_fixed_size: 0
    .sgpr_count:     18
    .sgpr_spill_count: 0
    .symbol:         _ZN5aiter14LLGemm1_kernelI12hip_bfloat16Li8EEEvPKT_S4_PS2_i.kd
    .uniform_work_group_size: 1
    .uses_dynamic_stack: false
    .vgpr_count:     75
    .vgpr_spill_count: 0
    .wavefront_size: 32
    .workgroup_processor_mode: 1
  - .args:
      - .address_space:  global
        .offset:         0
        .size:           8
        .value_kind:     global_buffer
      - .address_space:  global
        .offset:         8
        .size:           8
        .value_kind:     global_buffer
      - .address_space:  global
        .offset:         16
        .size:           8
        .value_kind:     global_buffer
      - .offset:         24
        .size:           4
        .value_kind:     by_value
      - .offset:         32
        .size:           4
        .value_kind:     hidden_block_count_x
      - .offset:         36
        .size:           4
        .value_kind:     hidden_block_count_y
      - .offset:         40
        .size:           4
        .value_kind:     hidden_block_count_z
      - .offset:         44
        .size:           2
        .value_kind:     hidden_group_size_x
      - .offset:         46
        .size:           2
        .value_kind:     hidden_group_size_y
      - .offset:         48
        .size:           2
        .value_kind:     hidden_group_size_z
      - .offset:         50
        .size:           2
        .value_kind:     hidden_remainder_x
      - .offset:         52
        .size:           2
        .value_kind:     hidden_remainder_y
      - .offset:         54
        .size:           2
        .value_kind:     hidden_remainder_z
      - .offset:         72
        .size:           8
        .value_kind:     hidden_global_offset_x
      - .offset:         80
        .size:           8
        .value_kind:     hidden_global_offset_y
      - .offset:         88
        .size:           8
        .value_kind:     hidden_global_offset_z
      - .offset:         96
        .size:           2
        .value_kind:     hidden_grid_dims
    .group_segment_fixed_size: 2048
    .kernarg_segment_align: 8
    .kernarg_segment_size: 288
    .language:       OpenCL C
    .language_version:
      - 2
      - 0
    .max_flat_workgroup_size: 1024
    .name:           _ZN5aiter14LLGemm1_kernelI12hip_bfloat16Li16EEEvPKT_S4_PS2_i
    .private_segment_fixed_size: 0
    .sgpr_count:     21
    .sgpr_spill_count: 0
    .symbol:         _ZN5aiter14LLGemm1_kernelI12hip_bfloat16Li16EEEvPKT_S4_PS2_i.kd
    .uniform_work_group_size: 1
    .uses_dynamic_stack: false
    .vgpr_count:     140
    .vgpr_spill_count: 0
    .wavefront_size: 32
    .workgroup_processor_mode: 1
  - .args:
      - .offset:         0
        .size:           4
        .value_kind:     by_value
      - .offset:         4
        .size:           4
        .value_kind:     by_value
      - .address_space:  global
        .offset:         8
        .size:           8
        .value_kind:     global_buffer
      - .actual_access:  read_only
        .address_space:  global
        .offset:         16
        .size:           8
        .value_kind:     global_buffer
      - .address_space:  global
        .offset:         24
        .size:           8
        .value_kind:     global_buffer
      - .offset:         32
        .size:           4
        .value_kind:     by_value
      - .offset:         36
        .size:           4
        .value_kind:     by_value
      - .offset:         40
        .size:           4
        .value_kind:     hidden_block_count_x
      - .offset:         44
        .size:           4
        .value_kind:     hidden_block_count_y
      - .offset:         48
        .size:           4
        .value_kind:     hidden_block_count_z
      - .offset:         52
        .size:           2
        .value_kind:     hidden_group_size_x
      - .offset:         54
        .size:           2
        .value_kind:     hidden_group_size_y
      - .offset:         56
        .size:           2
        .value_kind:     hidden_group_size_z
      - .offset:         58
        .size:           2
        .value_kind:     hidden_remainder_x
      - .offset:         60
        .size:           2
        .value_kind:     hidden_remainder_y
      - .offset:         62
        .size:           2
        .value_kind:     hidden_remainder_z
      - .offset:         80
        .size:           8
        .value_kind:     hidden_global_offset_x
      - .offset:         88
        .size:           8
        .value_kind:     hidden_global_offset_y
      - .offset:         96
        .size:           8
        .value_kind:     hidden_global_offset_z
      - .offset:         104
        .size:           2
        .value_kind:     hidden_grid_dims
      - .offset:         120
        .size:           8
        .value_kind:     hidden_hostcall_buffer
    .group_segment_fixed_size: 0
    .kernarg_segment_align: 8
    .kernarg_segment_size: 296
    .language:       OpenCL C
    .language_version:
      - 2
      - 0
    .max_flat_workgroup_size: 1024
    .name:           _ZN5aiter32wv_splitk_small_fp16_bf16_kernelI6__halfLi64ELi1ELi1ELi8ELi4ELi1EEEviiPKT_S4_PS2_ii
    .private_segment_fixed_size: 64
    .sgpr_count:     36
    .sgpr_spill_count: 0
    .symbol:         _ZN5aiter32wv_splitk_small_fp16_bf16_kernelI6__halfLi64ELi1ELi1ELi8ELi4ELi1EEEviiPKT_S4_PS2_ii.kd
    .uniform_work_group_size: 1
    .uses_dynamic_stack: false
    .vgpr_count:     50
    .vgpr_spill_count: 0
    .wavefront_size: 32
    .workgroup_processor_mode: 1
  - .args:
      - .offset:         0
        .size:           4
        .value_kind:     by_value
      - .offset:         4
        .size:           4
        .value_kind:     by_value
      - .address_space:  global
        .offset:         8
        .size:           8
        .value_kind:     global_buffer
      - .actual_access:  read_only
        .address_space:  global
        .offset:         16
        .size:           8
        .value_kind:     global_buffer
      - .address_space:  global
        .offset:         24
        .size:           8
        .value_kind:     global_buffer
      - .offset:         32
        .size:           4
        .value_kind:     by_value
      - .offset:         36
        .size:           4
        .value_kind:     by_value
      - .offset:         40
        .size:           4
        .value_kind:     hidden_block_count_x
      - .offset:         44
        .size:           4
        .value_kind:     hidden_block_count_y
      - .offset:         48
        .size:           4
        .value_kind:     hidden_block_count_z
      - .offset:         52
        .size:           2
        .value_kind:     hidden_group_size_x
      - .offset:         54
        .size:           2
        .value_kind:     hidden_group_size_y
      - .offset:         56
        .size:           2
        .value_kind:     hidden_group_size_z
      - .offset:         58
        .size:           2
        .value_kind:     hidden_remainder_x
      - .offset:         60
        .size:           2
        .value_kind:     hidden_remainder_y
      - .offset:         62
        .size:           2
        .value_kind:     hidden_remainder_z
      - .offset:         80
        .size:           8
        .value_kind:     hidden_global_offset_x
      - .offset:         88
        .size:           8
        .value_kind:     hidden_global_offset_y
      - .offset:         96
        .size:           8
        .value_kind:     hidden_global_offset_z
      - .offset:         104
        .size:           2
        .value_kind:     hidden_grid_dims
      - .offset:         120
        .size:           8
        .value_kind:     hidden_hostcall_buffer
    .group_segment_fixed_size: 0
    .kernarg_segment_align: 8
    .kernarg_segment_size: 296
    .language:       OpenCL C
    .language_version:
      - 2
      - 0
    .max_flat_workgroup_size: 1024
    .name:           _ZN5aiter32wv_splitk_small_fp16_bf16_kernelI6__halfLi64ELi1ELi1ELi8ELi4ELi2EEEviiPKT_S4_PS2_ii
    .private_segment_fixed_size: 64
    .sgpr_count:     36
    .sgpr_spill_count: 0
    .symbol:         _ZN5aiter32wv_splitk_small_fp16_bf16_kernelI6__halfLi64ELi1ELi1ELi8ELi4ELi2EEEviiPKT_S4_PS2_ii.kd
    .uniform_work_group_size: 1
    .uses_dynamic_stack: false
    .vgpr_count:     50
    .vgpr_spill_count: 0
    .wavefront_size: 32
    .workgroup_processor_mode: 1
  - .args:
      - .offset:         0
        .size:           4
        .value_kind:     by_value
      - .offset:         4
        .size:           4
        .value_kind:     by_value
      - .address_space:  global
        .offset:         8
        .size:           8
        .value_kind:     global_buffer
      - .actual_access:  read_only
        .address_space:  global
        .offset:         16
        .size:           8
        .value_kind:     global_buffer
      - .address_space:  global
        .offset:         24
        .size:           8
        .value_kind:     global_buffer
      - .offset:         32
        .size:           4
        .value_kind:     by_value
      - .offset:         36
        .size:           4
        .value_kind:     by_value
      - .offset:         40
        .size:           4
        .value_kind:     hidden_block_count_x
      - .offset:         44
        .size:           4
        .value_kind:     hidden_block_count_y
      - .offset:         48
        .size:           4
        .value_kind:     hidden_block_count_z
      - .offset:         52
        .size:           2
        .value_kind:     hidden_group_size_x
      - .offset:         54
        .size:           2
        .value_kind:     hidden_group_size_y
      - .offset:         56
        .size:           2
        .value_kind:     hidden_group_size_z
      - .offset:         58
        .size:           2
        .value_kind:     hidden_remainder_x
      - .offset:         60
        .size:           2
        .value_kind:     hidden_remainder_y
      - .offset:         62
        .size:           2
        .value_kind:     hidden_remainder_z
      - .offset:         80
        .size:           8
        .value_kind:     hidden_global_offset_x
      - .offset:         88
        .size:           8
        .value_kind:     hidden_global_offset_y
      - .offset:         96
        .size:           8
        .value_kind:     hidden_global_offset_z
      - .offset:         104
        .size:           2
        .value_kind:     hidden_grid_dims
      - .offset:         120
        .size:           8
        .value_kind:     hidden_hostcall_buffer
    .group_segment_fixed_size: 0
    .kernarg_segment_align: 8
    .kernarg_segment_size: 296
    .language:       OpenCL C
    .language_version:
      - 2
      - 0
    .max_flat_workgroup_size: 1024
    .name:           _ZN5aiter32wv_splitk_small_fp16_bf16_kernelI6__halfLi64ELi1ELi1ELi8ELi4ELi3EEEviiPKT_S4_PS2_ii
    .private_segment_fixed_size: 64
    .sgpr_count:     36
    .sgpr_spill_count: 0
    .symbol:         _ZN5aiter32wv_splitk_small_fp16_bf16_kernelI6__halfLi64ELi1ELi1ELi8ELi4ELi3EEEviiPKT_S4_PS2_ii.kd
    .uniform_work_group_size: 1
    .uses_dynamic_stack: false
    .vgpr_count:     50
    .vgpr_spill_count: 0
    .wavefront_size: 32
    .workgroup_processor_mode: 1
  - .args:
      - .offset:         0
        .size:           4
        .value_kind:     by_value
      - .offset:         4
        .size:           4
        .value_kind:     by_value
      - .address_space:  global
        .offset:         8
        .size:           8
        .value_kind:     global_buffer
      - .actual_access:  read_only
        .address_space:  global
        .offset:         16
        .size:           8
        .value_kind:     global_buffer
      - .address_space:  global
        .offset:         24
        .size:           8
        .value_kind:     global_buffer
      - .offset:         32
        .size:           4
        .value_kind:     by_value
      - .offset:         36
        .size:           4
        .value_kind:     by_value
      - .offset:         40
        .size:           4
        .value_kind:     hidden_block_count_x
      - .offset:         44
        .size:           4
        .value_kind:     hidden_block_count_y
      - .offset:         48
        .size:           4
        .value_kind:     hidden_block_count_z
      - .offset:         52
        .size:           2
        .value_kind:     hidden_group_size_x
      - .offset:         54
        .size:           2
        .value_kind:     hidden_group_size_y
      - .offset:         56
        .size:           2
        .value_kind:     hidden_group_size_z
      - .offset:         58
        .size:           2
        .value_kind:     hidden_remainder_x
      - .offset:         60
        .size:           2
        .value_kind:     hidden_remainder_y
      - .offset:         62
        .size:           2
        .value_kind:     hidden_remainder_z
      - .offset:         80
        .size:           8
        .value_kind:     hidden_global_offset_x
      - .offset:         88
        .size:           8
        .value_kind:     hidden_global_offset_y
      - .offset:         96
        .size:           8
        .value_kind:     hidden_global_offset_z
      - .offset:         104
        .size:           2
        .value_kind:     hidden_grid_dims
      - .offset:         120
        .size:           8
        .value_kind:     hidden_hostcall_buffer
    .group_segment_fixed_size: 0
    .kernarg_segment_align: 8
    .kernarg_segment_size: 296
    .language:       OpenCL C
    .language_version:
      - 2
      - 0
    .max_flat_workgroup_size: 1024
    .name:           _ZN5aiter32wv_splitk_small_fp16_bf16_kernelI6__halfLi64ELi1ELi1ELi8ELi4ELi4EEEviiPKT_S4_PS2_ii
    .private_segment_fixed_size: 64
    .sgpr_count:     36
    .sgpr_spill_count: 0
    .symbol:         _ZN5aiter32wv_splitk_small_fp16_bf16_kernelI6__halfLi64ELi1ELi1ELi8ELi4ELi4EEEviiPKT_S4_PS2_ii.kd
    .uniform_work_group_size: 1
    .uses_dynamic_stack: false
    .vgpr_count:     50
    .vgpr_spill_count: 0
    .wavefront_size: 32
    .workgroup_processor_mode: 1
  - .args:
      - .offset:         0
        .size:           4
        .value_kind:     by_value
      - .offset:         4
        .size:           4
        .value_kind:     by_value
      - .address_space:  global
        .offset:         8
        .size:           8
        .value_kind:     global_buffer
      - .actual_access:  read_only
        .address_space:  global
        .offset:         16
        .size:           8
        .value_kind:     global_buffer
      - .address_space:  global
        .offset:         24
        .size:           8
        .value_kind:     global_buffer
      - .offset:         32
        .size:           4
        .value_kind:     by_value
      - .offset:         36
        .size:           4
        .value_kind:     by_value
      - .offset:         40
        .size:           4
        .value_kind:     hidden_block_count_x
      - .offset:         44
        .size:           4
        .value_kind:     hidden_block_count_y
      - .offset:         48
        .size:           4
        .value_kind:     hidden_block_count_z
      - .offset:         52
        .size:           2
        .value_kind:     hidden_group_size_x
      - .offset:         54
        .size:           2
        .value_kind:     hidden_group_size_y
      - .offset:         56
        .size:           2
        .value_kind:     hidden_group_size_z
      - .offset:         58
        .size:           2
        .value_kind:     hidden_remainder_x
      - .offset:         60
        .size:           2
        .value_kind:     hidden_remainder_y
      - .offset:         62
        .size:           2
        .value_kind:     hidden_remainder_z
      - .offset:         80
        .size:           8
        .value_kind:     hidden_global_offset_x
      - .offset:         88
        .size:           8
        .value_kind:     hidden_global_offset_y
      - .offset:         96
        .size:           8
        .value_kind:     hidden_global_offset_z
      - .offset:         104
        .size:           2
        .value_kind:     hidden_grid_dims
      - .offset:         120
        .size:           8
        .value_kind:     hidden_hostcall_buffer
    .group_segment_fixed_size: 0
    .kernarg_segment_align: 8
    .kernarg_segment_size: 296
    .language:       OpenCL C
    .language_version:
      - 2
      - 0
    .max_flat_workgroup_size: 1024
    .name:           _ZN5aiter32wv_splitk_small_fp16_bf16_kernelI6__halfLi64ELi1ELi1ELi8ELi4ELi5EEEviiPKT_S4_PS2_ii
    .private_segment_fixed_size: 64
    .sgpr_count:     36
    .sgpr_spill_count: 0
    .symbol:         _ZN5aiter32wv_splitk_small_fp16_bf16_kernelI6__halfLi64ELi1ELi1ELi8ELi4ELi5EEEviiPKT_S4_PS2_ii.kd
    .uniform_work_group_size: 1
    .uses_dynamic_stack: false
    .vgpr_count:     50
    .vgpr_spill_count: 0
    .wavefront_size: 32
    .workgroup_processor_mode: 1
  - .args:
      - .offset:         0
        .size:           4
        .value_kind:     by_value
      - .offset:         4
        .size:           4
        .value_kind:     by_value
      - .address_space:  global
        .offset:         8
        .size:           8
        .value_kind:     global_buffer
      - .actual_access:  read_only
        .address_space:  global
        .offset:         16
        .size:           8
        .value_kind:     global_buffer
      - .address_space:  global
        .offset:         24
        .size:           8
        .value_kind:     global_buffer
      - .offset:         32
        .size:           4
        .value_kind:     by_value
      - .offset:         36
        .size:           4
        .value_kind:     by_value
      - .offset:         40
        .size:           4
        .value_kind:     hidden_block_count_x
      - .offset:         44
        .size:           4
        .value_kind:     hidden_block_count_y
      - .offset:         48
        .size:           4
        .value_kind:     hidden_block_count_z
      - .offset:         52
        .size:           2
        .value_kind:     hidden_group_size_x
      - .offset:         54
        .size:           2
        .value_kind:     hidden_group_size_y
      - .offset:         56
        .size:           2
        .value_kind:     hidden_group_size_z
      - .offset:         58
        .size:           2
        .value_kind:     hidden_remainder_x
      - .offset:         60
        .size:           2
        .value_kind:     hidden_remainder_y
      - .offset:         62
        .size:           2
        .value_kind:     hidden_remainder_z
      - .offset:         80
        .size:           8
        .value_kind:     hidden_global_offset_x
      - .offset:         88
        .size:           8
        .value_kind:     hidden_global_offset_y
      - .offset:         96
        .size:           8
        .value_kind:     hidden_global_offset_z
      - .offset:         104
        .size:           2
        .value_kind:     hidden_grid_dims
      - .offset:         120
        .size:           8
        .value_kind:     hidden_hostcall_buffer
    .group_segment_fixed_size: 0
    .kernarg_segment_align: 8
    .kernarg_segment_size: 296
    .language:       OpenCL C
    .language_version:
      - 2
      - 0
    .max_flat_workgroup_size: 1024
    .name:           _ZN5aiter32wv_splitk_small_fp16_bf16_kernelI6__halfLi64ELi1ELi1ELi8ELi4ELi6EEEviiPKT_S4_PS2_ii
    .private_segment_fixed_size: 64
    .sgpr_count:     36
    .sgpr_spill_count: 0
    .symbol:         _ZN5aiter32wv_splitk_small_fp16_bf16_kernelI6__halfLi64ELi1ELi1ELi8ELi4ELi6EEEviiPKT_S4_PS2_ii.kd
    .uniform_work_group_size: 1
    .uses_dynamic_stack: false
    .vgpr_count:     50
    .vgpr_spill_count: 0
    .wavefront_size: 32
    .workgroup_processor_mode: 1
  - .args:
      - .offset:         0
        .size:           4
        .value_kind:     by_value
      - .offset:         4
        .size:           4
        .value_kind:     by_value
      - .address_space:  global
        .offset:         8
        .size:           8
        .value_kind:     global_buffer
      - .actual_access:  read_only
        .address_space:  global
        .offset:         16
        .size:           8
        .value_kind:     global_buffer
      - .address_space:  global
        .offset:         24
        .size:           8
        .value_kind:     global_buffer
      - .offset:         32
        .size:           4
        .value_kind:     by_value
      - .offset:         36
        .size:           4
        .value_kind:     by_value
      - .offset:         40
        .size:           4
        .value_kind:     hidden_block_count_x
      - .offset:         44
        .size:           4
        .value_kind:     hidden_block_count_y
      - .offset:         48
        .size:           4
        .value_kind:     hidden_block_count_z
      - .offset:         52
        .size:           2
        .value_kind:     hidden_group_size_x
      - .offset:         54
        .size:           2
        .value_kind:     hidden_group_size_y
      - .offset:         56
        .size:           2
        .value_kind:     hidden_group_size_z
      - .offset:         58
        .size:           2
        .value_kind:     hidden_remainder_x
      - .offset:         60
        .size:           2
        .value_kind:     hidden_remainder_y
      - .offset:         62
        .size:           2
        .value_kind:     hidden_remainder_z
      - .offset:         80
        .size:           8
        .value_kind:     hidden_global_offset_x
      - .offset:         88
        .size:           8
        .value_kind:     hidden_global_offset_y
      - .offset:         96
        .size:           8
        .value_kind:     hidden_global_offset_z
      - .offset:         104
        .size:           2
        .value_kind:     hidden_grid_dims
      - .offset:         120
        .size:           8
        .value_kind:     hidden_hostcall_buffer
    .group_segment_fixed_size: 0
    .kernarg_segment_align: 8
    .kernarg_segment_size: 296
    .language:       OpenCL C
    .language_version:
      - 2
      - 0
    .max_flat_workgroup_size: 1024
    .name:           _ZN5aiter32wv_splitk_small_fp16_bf16_kernelI6__halfLi64ELi1ELi1ELi8ELi4ELi7EEEviiPKT_S4_PS2_ii
    .private_segment_fixed_size: 64
    .sgpr_count:     36
    .sgpr_spill_count: 0
    .symbol:         _ZN5aiter32wv_splitk_small_fp16_bf16_kernelI6__halfLi64ELi1ELi1ELi8ELi4ELi7EEEviiPKT_S4_PS2_ii.kd
    .uniform_work_group_size: 1
    .uses_dynamic_stack: false
    .vgpr_count:     50
    .vgpr_spill_count: 0
    .wavefront_size: 32
    .workgroup_processor_mode: 1
  - .args:
      - .offset:         0
        .size:           4
        .value_kind:     by_value
      - .offset:         4
        .size:           4
        .value_kind:     by_value
      - .address_space:  global
        .offset:         8
        .size:           8
        .value_kind:     global_buffer
      - .actual_access:  read_only
        .address_space:  global
        .offset:         16
        .size:           8
        .value_kind:     global_buffer
      - .address_space:  global
        .offset:         24
        .size:           8
        .value_kind:     global_buffer
      - .offset:         32
        .size:           4
        .value_kind:     by_value
      - .offset:         36
        .size:           4
        .value_kind:     by_value
      - .offset:         40
        .size:           4
        .value_kind:     hidden_block_count_x
      - .offset:         44
        .size:           4
        .value_kind:     hidden_block_count_y
      - .offset:         48
        .size:           4
        .value_kind:     hidden_block_count_z
      - .offset:         52
        .size:           2
        .value_kind:     hidden_group_size_x
      - .offset:         54
        .size:           2
        .value_kind:     hidden_group_size_y
      - .offset:         56
        .size:           2
        .value_kind:     hidden_group_size_z
      - .offset:         58
        .size:           2
        .value_kind:     hidden_remainder_x
      - .offset:         60
        .size:           2
        .value_kind:     hidden_remainder_y
      - .offset:         62
        .size:           2
        .value_kind:     hidden_remainder_z
      - .offset:         80
        .size:           8
        .value_kind:     hidden_global_offset_x
      - .offset:         88
        .size:           8
        .value_kind:     hidden_global_offset_y
      - .offset:         96
        .size:           8
        .value_kind:     hidden_global_offset_z
      - .offset:         104
        .size:           2
        .value_kind:     hidden_grid_dims
      - .offset:         120
        .size:           8
        .value_kind:     hidden_hostcall_buffer
    .group_segment_fixed_size: 0
    .kernarg_segment_align: 8
    .kernarg_segment_size: 296
    .language:       OpenCL C
    .language_version:
      - 2
      - 0
    .max_flat_workgroup_size: 1024
    .name:           _ZN5aiter32wv_splitk_small_fp16_bf16_kernelI6__halfLi64ELi1ELi1ELi8ELi4ELi8EEEviiPKT_S4_PS2_ii
    .private_segment_fixed_size: 64
    .sgpr_count:     36
    .sgpr_spill_count: 0
    .symbol:         _ZN5aiter32wv_splitk_small_fp16_bf16_kernelI6__halfLi64ELi1ELi1ELi8ELi4ELi8EEEviiPKT_S4_PS2_ii.kd
    .uniform_work_group_size: 1
    .uses_dynamic_stack: false
    .vgpr_count:     50
    .vgpr_spill_count: 0
    .wavefront_size: 32
    .workgroup_processor_mode: 1
  - .args:
      - .offset:         0
        .size:           4
        .value_kind:     by_value
      - .offset:         4
        .size:           4
        .value_kind:     by_value
      - .address_space:  global
        .offset:         8
        .size:           8
        .value_kind:     global_buffer
      - .actual_access:  read_only
        .address_space:  global
        .offset:         16
        .size:           8
        .value_kind:     global_buffer
      - .address_space:  global
        .offset:         24
        .size:           8
        .value_kind:     global_buffer
      - .offset:         32
        .size:           4
        .value_kind:     by_value
      - .offset:         36
        .size:           4
        .value_kind:     by_value
      - .offset:         40
        .size:           4
        .value_kind:     hidden_block_count_x
      - .offset:         44
        .size:           4
        .value_kind:     hidden_block_count_y
      - .offset:         48
        .size:           4
        .value_kind:     hidden_block_count_z
      - .offset:         52
        .size:           2
        .value_kind:     hidden_group_size_x
      - .offset:         54
        .size:           2
        .value_kind:     hidden_group_size_y
      - .offset:         56
        .size:           2
        .value_kind:     hidden_group_size_z
      - .offset:         58
        .size:           2
        .value_kind:     hidden_remainder_x
      - .offset:         60
        .size:           2
        .value_kind:     hidden_remainder_y
      - .offset:         62
        .size:           2
        .value_kind:     hidden_remainder_z
      - .offset:         80
        .size:           8
        .value_kind:     hidden_global_offset_x
      - .offset:         88
        .size:           8
        .value_kind:     hidden_global_offset_y
      - .offset:         96
        .size:           8
        .value_kind:     hidden_global_offset_z
      - .offset:         104
        .size:           2
        .value_kind:     hidden_grid_dims
      - .offset:         120
        .size:           8
        .value_kind:     hidden_hostcall_buffer
    .group_segment_fixed_size: 0
    .kernarg_segment_align: 8
    .kernarg_segment_size: 296
    .language:       OpenCL C
    .language_version:
      - 2
      - 0
    .max_flat_workgroup_size: 1024
    .name:           _ZN5aiter32wv_splitk_small_fp16_bf16_kernelI6__halfLi64ELi1ELi1ELi8ELi4ELi9EEEviiPKT_S4_PS2_ii
    .private_segment_fixed_size: 64
    .sgpr_count:     36
    .sgpr_spill_count: 0
    .symbol:         _ZN5aiter32wv_splitk_small_fp16_bf16_kernelI6__halfLi64ELi1ELi1ELi8ELi4ELi9EEEviiPKT_S4_PS2_ii.kd
    .uniform_work_group_size: 1
    .uses_dynamic_stack: false
    .vgpr_count:     50
    .vgpr_spill_count: 0
    .wavefront_size: 32
    .workgroup_processor_mode: 1
  - .args:
      - .offset:         0
        .size:           4
        .value_kind:     by_value
      - .offset:         4
        .size:           4
        .value_kind:     by_value
      - .address_space:  global
        .offset:         8
        .size:           8
        .value_kind:     global_buffer
      - .actual_access:  read_only
        .address_space:  global
        .offset:         16
        .size:           8
        .value_kind:     global_buffer
      - .address_space:  global
        .offset:         24
        .size:           8
        .value_kind:     global_buffer
      - .offset:         32
        .size:           4
        .value_kind:     by_value
      - .offset:         36
        .size:           4
        .value_kind:     by_value
      - .offset:         40
        .size:           4
        .value_kind:     hidden_block_count_x
      - .offset:         44
        .size:           4
        .value_kind:     hidden_block_count_y
      - .offset:         48
        .size:           4
        .value_kind:     hidden_block_count_z
      - .offset:         52
        .size:           2
        .value_kind:     hidden_group_size_x
      - .offset:         54
        .size:           2
        .value_kind:     hidden_group_size_y
      - .offset:         56
        .size:           2
        .value_kind:     hidden_group_size_z
      - .offset:         58
        .size:           2
        .value_kind:     hidden_remainder_x
      - .offset:         60
        .size:           2
        .value_kind:     hidden_remainder_y
      - .offset:         62
        .size:           2
        .value_kind:     hidden_remainder_z
      - .offset:         80
        .size:           8
        .value_kind:     hidden_global_offset_x
      - .offset:         88
        .size:           8
        .value_kind:     hidden_global_offset_y
      - .offset:         96
        .size:           8
        .value_kind:     hidden_global_offset_z
      - .offset:         104
        .size:           2
        .value_kind:     hidden_grid_dims
      - .offset:         120
        .size:           8
        .value_kind:     hidden_hostcall_buffer
    .group_segment_fixed_size: 0
    .kernarg_segment_align: 8
    .kernarg_segment_size: 296
    .language:       OpenCL C
    .language_version:
      - 2
      - 0
    .max_flat_workgroup_size: 1024
    .name:           _ZN5aiter32wv_splitk_small_fp16_bf16_kernelI6__halfLi64ELi1ELi1ELi8ELi4ELi10EEEviiPKT_S4_PS2_ii
    .private_segment_fixed_size: 64
    .sgpr_count:     36
    .sgpr_spill_count: 0
    .symbol:         _ZN5aiter32wv_splitk_small_fp16_bf16_kernelI6__halfLi64ELi1ELi1ELi8ELi4ELi10EEEviiPKT_S4_PS2_ii.kd
    .uniform_work_group_size: 1
    .uses_dynamic_stack: false
    .vgpr_count:     50
    .vgpr_spill_count: 0
    .wavefront_size: 32
    .workgroup_processor_mode: 1
  - .args:
      - .offset:         0
        .size:           4
        .value_kind:     by_value
      - .offset:         4
        .size:           4
        .value_kind:     by_value
      - .address_space:  global
        .offset:         8
        .size:           8
        .value_kind:     global_buffer
      - .actual_access:  read_only
        .address_space:  global
        .offset:         16
        .size:           8
        .value_kind:     global_buffer
      - .address_space:  global
        .offset:         24
        .size:           8
        .value_kind:     global_buffer
      - .offset:         32
        .size:           4
        .value_kind:     by_value
      - .offset:         36
        .size:           4
        .value_kind:     by_value
      - .offset:         40
        .size:           4
        .value_kind:     hidden_block_count_x
      - .offset:         44
        .size:           4
        .value_kind:     hidden_block_count_y
      - .offset:         48
        .size:           4
        .value_kind:     hidden_block_count_z
      - .offset:         52
        .size:           2
        .value_kind:     hidden_group_size_x
      - .offset:         54
        .size:           2
        .value_kind:     hidden_group_size_y
      - .offset:         56
        .size:           2
        .value_kind:     hidden_group_size_z
      - .offset:         58
        .size:           2
        .value_kind:     hidden_remainder_x
      - .offset:         60
        .size:           2
        .value_kind:     hidden_remainder_y
      - .offset:         62
        .size:           2
        .value_kind:     hidden_remainder_z
      - .offset:         80
        .size:           8
        .value_kind:     hidden_global_offset_x
      - .offset:         88
        .size:           8
        .value_kind:     hidden_global_offset_y
      - .offset:         96
        .size:           8
        .value_kind:     hidden_global_offset_z
      - .offset:         104
        .size:           2
        .value_kind:     hidden_grid_dims
      - .offset:         120
        .size:           8
        .value_kind:     hidden_hostcall_buffer
    .group_segment_fixed_size: 0
    .kernarg_segment_align: 8
    .kernarg_segment_size: 296
    .language:       OpenCL C
    .language_version:
      - 2
      - 0
    .max_flat_workgroup_size: 1024
    .name:           _ZN5aiter32wv_splitk_small_fp16_bf16_kernelI6__halfLi64ELi1ELi1ELi8ELi4ELi11EEEviiPKT_S4_PS2_ii
    .private_segment_fixed_size: 64
    .sgpr_count:     36
    .sgpr_spill_count: 0
    .symbol:         _ZN5aiter32wv_splitk_small_fp16_bf16_kernelI6__halfLi64ELi1ELi1ELi8ELi4ELi11EEEviiPKT_S4_PS2_ii.kd
    .uniform_work_group_size: 1
    .uses_dynamic_stack: false
    .vgpr_count:     50
    .vgpr_spill_count: 0
    .wavefront_size: 32
    .workgroup_processor_mode: 1
  - .args:
      - .offset:         0
        .size:           4
        .value_kind:     by_value
      - .offset:         4
        .size:           4
        .value_kind:     by_value
      - .address_space:  global
        .offset:         8
        .size:           8
        .value_kind:     global_buffer
      - .actual_access:  read_only
        .address_space:  global
        .offset:         16
        .size:           8
        .value_kind:     global_buffer
      - .address_space:  global
        .offset:         24
        .size:           8
        .value_kind:     global_buffer
      - .offset:         32
        .size:           4
        .value_kind:     by_value
      - .offset:         36
        .size:           4
        .value_kind:     by_value
      - .offset:         40
        .size:           4
        .value_kind:     hidden_block_count_x
      - .offset:         44
        .size:           4
        .value_kind:     hidden_block_count_y
      - .offset:         48
        .size:           4
        .value_kind:     hidden_block_count_z
      - .offset:         52
        .size:           2
        .value_kind:     hidden_group_size_x
      - .offset:         54
        .size:           2
        .value_kind:     hidden_group_size_y
      - .offset:         56
        .size:           2
        .value_kind:     hidden_group_size_z
      - .offset:         58
        .size:           2
        .value_kind:     hidden_remainder_x
      - .offset:         60
        .size:           2
        .value_kind:     hidden_remainder_y
      - .offset:         62
        .size:           2
        .value_kind:     hidden_remainder_z
      - .offset:         80
        .size:           8
        .value_kind:     hidden_global_offset_x
      - .offset:         88
        .size:           8
        .value_kind:     hidden_global_offset_y
      - .offset:         96
        .size:           8
        .value_kind:     hidden_global_offset_z
      - .offset:         104
        .size:           2
        .value_kind:     hidden_grid_dims
      - .offset:         120
        .size:           8
        .value_kind:     hidden_hostcall_buffer
    .group_segment_fixed_size: 0
    .kernarg_segment_align: 8
    .kernarg_segment_size: 296
    .language:       OpenCL C
    .language_version:
      - 2
      - 0
    .max_flat_workgroup_size: 1024
    .name:           _ZN5aiter32wv_splitk_small_fp16_bf16_kernelI6__halfLi64ELi1ELi1ELi8ELi4ELi12EEEviiPKT_S4_PS2_ii
    .private_segment_fixed_size: 64
    .sgpr_count:     36
    .sgpr_spill_count: 0
    .symbol:         _ZN5aiter32wv_splitk_small_fp16_bf16_kernelI6__halfLi64ELi1ELi1ELi8ELi4ELi12EEEviiPKT_S4_PS2_ii.kd
    .uniform_work_group_size: 1
    .uses_dynamic_stack: false
    .vgpr_count:     50
    .vgpr_spill_count: 0
    .wavefront_size: 32
    .workgroup_processor_mode: 1
  - .args:
      - .offset:         0
        .size:           4
        .value_kind:     by_value
      - .offset:         4
        .size:           4
        .value_kind:     by_value
      - .address_space:  global
        .offset:         8
        .size:           8
        .value_kind:     global_buffer
      - .actual_access:  read_only
        .address_space:  global
        .offset:         16
        .size:           8
        .value_kind:     global_buffer
      - .address_space:  global
        .offset:         24
        .size:           8
        .value_kind:     global_buffer
      - .offset:         32
        .size:           4
        .value_kind:     by_value
      - .offset:         36
        .size:           4
        .value_kind:     by_value
      - .offset:         40
        .size:           4
        .value_kind:     hidden_block_count_x
      - .offset:         44
        .size:           4
        .value_kind:     hidden_block_count_y
      - .offset:         48
        .size:           4
        .value_kind:     hidden_block_count_z
      - .offset:         52
        .size:           2
        .value_kind:     hidden_group_size_x
      - .offset:         54
        .size:           2
        .value_kind:     hidden_group_size_y
      - .offset:         56
        .size:           2
        .value_kind:     hidden_group_size_z
      - .offset:         58
        .size:           2
        .value_kind:     hidden_remainder_x
      - .offset:         60
        .size:           2
        .value_kind:     hidden_remainder_y
      - .offset:         62
        .size:           2
        .value_kind:     hidden_remainder_z
      - .offset:         80
        .size:           8
        .value_kind:     hidden_global_offset_x
      - .offset:         88
        .size:           8
        .value_kind:     hidden_global_offset_y
      - .offset:         96
        .size:           8
        .value_kind:     hidden_global_offset_z
      - .offset:         104
        .size:           2
        .value_kind:     hidden_grid_dims
      - .offset:         120
        .size:           8
        .value_kind:     hidden_hostcall_buffer
    .group_segment_fixed_size: 0
    .kernarg_segment_align: 8
    .kernarg_segment_size: 296
    .language:       OpenCL C
    .language_version:
      - 2
      - 0
    .max_flat_workgroup_size: 1024
    .name:           _ZN5aiter32wv_splitk_small_fp16_bf16_kernelI6__halfLi64ELi1ELi1ELi8ELi4ELi13EEEviiPKT_S4_PS2_ii
    .private_segment_fixed_size: 64
    .sgpr_count:     36
    .sgpr_spill_count: 0
    .symbol:         _ZN5aiter32wv_splitk_small_fp16_bf16_kernelI6__halfLi64ELi1ELi1ELi8ELi4ELi13EEEviiPKT_S4_PS2_ii.kd
    .uniform_work_group_size: 1
    .uses_dynamic_stack: false
    .vgpr_count:     50
    .vgpr_spill_count: 0
    .wavefront_size: 32
    .workgroup_processor_mode: 1
  - .args:
      - .offset:         0
        .size:           4
        .value_kind:     by_value
      - .offset:         4
        .size:           4
        .value_kind:     by_value
      - .address_space:  global
        .offset:         8
        .size:           8
        .value_kind:     global_buffer
      - .actual_access:  read_only
        .address_space:  global
        .offset:         16
        .size:           8
        .value_kind:     global_buffer
      - .address_space:  global
        .offset:         24
        .size:           8
        .value_kind:     global_buffer
      - .offset:         32
        .size:           4
        .value_kind:     by_value
      - .offset:         36
        .size:           4
        .value_kind:     by_value
      - .offset:         40
        .size:           4
        .value_kind:     hidden_block_count_x
      - .offset:         44
        .size:           4
        .value_kind:     hidden_block_count_y
      - .offset:         48
        .size:           4
        .value_kind:     hidden_block_count_z
      - .offset:         52
        .size:           2
        .value_kind:     hidden_group_size_x
      - .offset:         54
        .size:           2
        .value_kind:     hidden_group_size_y
      - .offset:         56
        .size:           2
        .value_kind:     hidden_group_size_z
      - .offset:         58
        .size:           2
        .value_kind:     hidden_remainder_x
      - .offset:         60
        .size:           2
        .value_kind:     hidden_remainder_y
      - .offset:         62
        .size:           2
        .value_kind:     hidden_remainder_z
      - .offset:         80
        .size:           8
        .value_kind:     hidden_global_offset_x
      - .offset:         88
        .size:           8
        .value_kind:     hidden_global_offset_y
      - .offset:         96
        .size:           8
        .value_kind:     hidden_global_offset_z
      - .offset:         104
        .size:           2
        .value_kind:     hidden_grid_dims
      - .offset:         120
        .size:           8
        .value_kind:     hidden_hostcall_buffer
    .group_segment_fixed_size: 0
    .kernarg_segment_align: 8
    .kernarg_segment_size: 296
    .language:       OpenCL C
    .language_version:
      - 2
      - 0
    .max_flat_workgroup_size: 1024
    .name:           _ZN5aiter32wv_splitk_small_fp16_bf16_kernelI6__halfLi64ELi1ELi1ELi8ELi4ELi14EEEviiPKT_S4_PS2_ii
    .private_segment_fixed_size: 64
    .sgpr_count:     36
    .sgpr_spill_count: 0
    .symbol:         _ZN5aiter32wv_splitk_small_fp16_bf16_kernelI6__halfLi64ELi1ELi1ELi8ELi4ELi14EEEviiPKT_S4_PS2_ii.kd
    .uniform_work_group_size: 1
    .uses_dynamic_stack: false
    .vgpr_count:     50
    .vgpr_spill_count: 0
    .wavefront_size: 32
    .workgroup_processor_mode: 1
  - .args:
      - .offset:         0
        .size:           4
        .value_kind:     by_value
      - .offset:         4
        .size:           4
        .value_kind:     by_value
      - .address_space:  global
        .offset:         8
        .size:           8
        .value_kind:     global_buffer
      - .actual_access:  read_only
        .address_space:  global
        .offset:         16
        .size:           8
        .value_kind:     global_buffer
      - .address_space:  global
        .offset:         24
        .size:           8
        .value_kind:     global_buffer
      - .offset:         32
        .size:           4
        .value_kind:     by_value
      - .offset:         36
        .size:           4
        .value_kind:     by_value
      - .offset:         40
        .size:           4
        .value_kind:     hidden_block_count_x
      - .offset:         44
        .size:           4
        .value_kind:     hidden_block_count_y
      - .offset:         48
        .size:           4
        .value_kind:     hidden_block_count_z
      - .offset:         52
        .size:           2
        .value_kind:     hidden_group_size_x
      - .offset:         54
        .size:           2
        .value_kind:     hidden_group_size_y
      - .offset:         56
        .size:           2
        .value_kind:     hidden_group_size_z
      - .offset:         58
        .size:           2
        .value_kind:     hidden_remainder_x
      - .offset:         60
        .size:           2
        .value_kind:     hidden_remainder_y
      - .offset:         62
        .size:           2
        .value_kind:     hidden_remainder_z
      - .offset:         80
        .size:           8
        .value_kind:     hidden_global_offset_x
      - .offset:         88
        .size:           8
        .value_kind:     hidden_global_offset_y
      - .offset:         96
        .size:           8
        .value_kind:     hidden_global_offset_z
      - .offset:         104
        .size:           2
        .value_kind:     hidden_grid_dims
      - .offset:         120
        .size:           8
        .value_kind:     hidden_hostcall_buffer
    .group_segment_fixed_size: 0
    .kernarg_segment_align: 8
    .kernarg_segment_size: 296
    .language:       OpenCL C
    .language_version:
      - 2
      - 0
    .max_flat_workgroup_size: 1024
    .name:           _ZN5aiter32wv_splitk_small_fp16_bf16_kernelI6__halfLi64ELi1ELi1ELi8ELi4ELi15EEEviiPKT_S4_PS2_ii
    .private_segment_fixed_size: 64
    .sgpr_count:     36
    .sgpr_spill_count: 0
    .symbol:         _ZN5aiter32wv_splitk_small_fp16_bf16_kernelI6__halfLi64ELi1ELi1ELi8ELi4ELi15EEEviiPKT_S4_PS2_ii.kd
    .uniform_work_group_size: 1
    .uses_dynamic_stack: false
    .vgpr_count:     50
    .vgpr_spill_count: 0
    .wavefront_size: 32
    .workgroup_processor_mode: 1
  - .args:
      - .offset:         0
        .size:           4
        .value_kind:     by_value
      - .offset:         4
        .size:           4
        .value_kind:     by_value
      - .address_space:  global
        .offset:         8
        .size:           8
        .value_kind:     global_buffer
      - .actual_access:  read_only
        .address_space:  global
        .offset:         16
        .size:           8
        .value_kind:     global_buffer
      - .address_space:  global
        .offset:         24
        .size:           8
        .value_kind:     global_buffer
      - .offset:         32
        .size:           4
        .value_kind:     by_value
      - .offset:         36
        .size:           4
        .value_kind:     by_value
      - .offset:         40
        .size:           4
        .value_kind:     hidden_block_count_x
      - .offset:         44
        .size:           4
        .value_kind:     hidden_block_count_y
      - .offset:         48
        .size:           4
        .value_kind:     hidden_block_count_z
      - .offset:         52
        .size:           2
        .value_kind:     hidden_group_size_x
      - .offset:         54
        .size:           2
        .value_kind:     hidden_group_size_y
      - .offset:         56
        .size:           2
        .value_kind:     hidden_group_size_z
      - .offset:         58
        .size:           2
        .value_kind:     hidden_remainder_x
      - .offset:         60
        .size:           2
        .value_kind:     hidden_remainder_y
      - .offset:         62
        .size:           2
        .value_kind:     hidden_remainder_z
      - .offset:         80
        .size:           8
        .value_kind:     hidden_global_offset_x
      - .offset:         88
        .size:           8
        .value_kind:     hidden_global_offset_y
      - .offset:         96
        .size:           8
        .value_kind:     hidden_global_offset_z
      - .offset:         104
        .size:           2
        .value_kind:     hidden_grid_dims
      - .offset:         120
        .size:           8
        .value_kind:     hidden_hostcall_buffer
    .group_segment_fixed_size: 0
    .kernarg_segment_align: 8
    .kernarg_segment_size: 296
    .language:       OpenCL C
    .language_version:
      - 2
      - 0
    .max_flat_workgroup_size: 1024
    .name:           _ZN5aiter32wv_splitk_small_fp16_bf16_kernelI6__halfLi64ELi1ELi1ELi8ELi4ELi16EEEviiPKT_S4_PS2_ii
    .private_segment_fixed_size: 64
    .sgpr_count:     36
    .sgpr_spill_count: 0
    .symbol:         _ZN5aiter32wv_splitk_small_fp16_bf16_kernelI6__halfLi64ELi1ELi1ELi8ELi4ELi16EEEviiPKT_S4_PS2_ii.kd
    .uniform_work_group_size: 1
    .uses_dynamic_stack: false
    .vgpr_count:     50
    .vgpr_spill_count: 0
    .wavefront_size: 32
    .workgroup_processor_mode: 1
  - .args:
      - .offset:         0
        .size:           4
        .value_kind:     by_value
      - .offset:         4
        .size:           4
        .value_kind:     by_value
      - .address_space:  global
        .offset:         8
        .size:           8
        .value_kind:     global_buffer
      - .actual_access:  read_only
        .address_space:  global
        .offset:         16
        .size:           8
        .value_kind:     global_buffer
      - .address_space:  global
        .offset:         24
        .size:           8
        .value_kind:     global_buffer
      - .offset:         32
        .size:           4
        .value_kind:     by_value
      - .offset:         36
        .size:           4
        .value_kind:     by_value
      - .offset:         40
        .size:           4
        .value_kind:     hidden_block_count_x
      - .offset:         44
        .size:           4
        .value_kind:     hidden_block_count_y
      - .offset:         48
        .size:           4
        .value_kind:     hidden_block_count_z
      - .offset:         52
        .size:           2
        .value_kind:     hidden_group_size_x
      - .offset:         54
        .size:           2
        .value_kind:     hidden_group_size_y
      - .offset:         56
        .size:           2
        .value_kind:     hidden_group_size_z
      - .offset:         58
        .size:           2
        .value_kind:     hidden_remainder_x
      - .offset:         60
        .size:           2
        .value_kind:     hidden_remainder_y
      - .offset:         62
        .size:           2
        .value_kind:     hidden_remainder_z
      - .offset:         80
        .size:           8
        .value_kind:     hidden_global_offset_x
      - .offset:         88
        .size:           8
        .value_kind:     hidden_global_offset_y
      - .offset:         96
        .size:           8
        .value_kind:     hidden_global_offset_z
      - .offset:         104
        .size:           2
        .value_kind:     hidden_grid_dims
      - .offset:         120
        .size:           8
        .value_kind:     hidden_hostcall_buffer
    .group_segment_fixed_size: 0
    .kernarg_segment_align: 8
    .kernarg_segment_size: 296
    .language:       OpenCL C
    .language_version:
      - 2
      - 0
    .max_flat_workgroup_size: 1024
    .name:           _ZN5aiter32wv_splitk_small_fp16_bf16_kernelI14__hip_bfloat16Li64ELi1ELi1ELi8ELi4ELi1EEEviiPKT_S4_PS2_ii
    .private_segment_fixed_size: 64
    .sgpr_count:     36
    .sgpr_spill_count: 0
    .symbol:         _ZN5aiter32wv_splitk_small_fp16_bf16_kernelI14__hip_bfloat16Li64ELi1ELi1ELi8ELi4ELi1EEEviiPKT_S4_PS2_ii.kd
    .uniform_work_group_size: 1
    .uses_dynamic_stack: false
    .vgpr_count:     50
    .vgpr_spill_count: 0
    .wavefront_size: 32
    .workgroup_processor_mode: 1
  - .args:
      - .offset:         0
        .size:           4
        .value_kind:     by_value
      - .offset:         4
        .size:           4
        .value_kind:     by_value
      - .address_space:  global
        .offset:         8
        .size:           8
        .value_kind:     global_buffer
      - .actual_access:  read_only
        .address_space:  global
        .offset:         16
        .size:           8
        .value_kind:     global_buffer
      - .address_space:  global
        .offset:         24
        .size:           8
        .value_kind:     global_buffer
      - .offset:         32
        .size:           4
        .value_kind:     by_value
      - .offset:         36
        .size:           4
        .value_kind:     by_value
      - .offset:         40
        .size:           4
        .value_kind:     hidden_block_count_x
      - .offset:         44
        .size:           4
        .value_kind:     hidden_block_count_y
      - .offset:         48
        .size:           4
        .value_kind:     hidden_block_count_z
      - .offset:         52
        .size:           2
        .value_kind:     hidden_group_size_x
      - .offset:         54
        .size:           2
        .value_kind:     hidden_group_size_y
      - .offset:         56
        .size:           2
        .value_kind:     hidden_group_size_z
      - .offset:         58
        .size:           2
        .value_kind:     hidden_remainder_x
      - .offset:         60
        .size:           2
        .value_kind:     hidden_remainder_y
      - .offset:         62
        .size:           2
        .value_kind:     hidden_remainder_z
      - .offset:         80
        .size:           8
        .value_kind:     hidden_global_offset_x
      - .offset:         88
        .size:           8
        .value_kind:     hidden_global_offset_y
      - .offset:         96
        .size:           8
        .value_kind:     hidden_global_offset_z
      - .offset:         104
        .size:           2
        .value_kind:     hidden_grid_dims
      - .offset:         120
        .size:           8
        .value_kind:     hidden_hostcall_buffer
    .group_segment_fixed_size: 0
    .kernarg_segment_align: 8
    .kernarg_segment_size: 296
    .language:       OpenCL C
    .language_version:
      - 2
      - 0
    .max_flat_workgroup_size: 1024
    .name:           _ZN5aiter32wv_splitk_small_fp16_bf16_kernelI14__hip_bfloat16Li64ELi1ELi1ELi8ELi4ELi2EEEviiPKT_S4_PS2_ii
    .private_segment_fixed_size: 64
    .sgpr_count:     36
    .sgpr_spill_count: 0
    .symbol:         _ZN5aiter32wv_splitk_small_fp16_bf16_kernelI14__hip_bfloat16Li64ELi1ELi1ELi8ELi4ELi2EEEviiPKT_S4_PS2_ii.kd
    .uniform_work_group_size: 1
    .uses_dynamic_stack: false
    .vgpr_count:     50
    .vgpr_spill_count: 0
    .wavefront_size: 32
    .workgroup_processor_mode: 1
  - .args:
      - .offset:         0
        .size:           4
        .value_kind:     by_value
      - .offset:         4
        .size:           4
        .value_kind:     by_value
      - .address_space:  global
        .offset:         8
        .size:           8
        .value_kind:     global_buffer
      - .actual_access:  read_only
        .address_space:  global
        .offset:         16
        .size:           8
        .value_kind:     global_buffer
      - .address_space:  global
        .offset:         24
        .size:           8
        .value_kind:     global_buffer
      - .offset:         32
        .size:           4
        .value_kind:     by_value
      - .offset:         36
        .size:           4
        .value_kind:     by_value
      - .offset:         40
        .size:           4
        .value_kind:     hidden_block_count_x
      - .offset:         44
        .size:           4
        .value_kind:     hidden_block_count_y
      - .offset:         48
        .size:           4
        .value_kind:     hidden_block_count_z
      - .offset:         52
        .size:           2
        .value_kind:     hidden_group_size_x
      - .offset:         54
        .size:           2
        .value_kind:     hidden_group_size_y
      - .offset:         56
        .size:           2
        .value_kind:     hidden_group_size_z
      - .offset:         58
        .size:           2
        .value_kind:     hidden_remainder_x
      - .offset:         60
        .size:           2
        .value_kind:     hidden_remainder_y
      - .offset:         62
        .size:           2
        .value_kind:     hidden_remainder_z
      - .offset:         80
        .size:           8
        .value_kind:     hidden_global_offset_x
      - .offset:         88
        .size:           8
        .value_kind:     hidden_global_offset_y
      - .offset:         96
        .size:           8
        .value_kind:     hidden_global_offset_z
      - .offset:         104
        .size:           2
        .value_kind:     hidden_grid_dims
      - .offset:         120
        .size:           8
        .value_kind:     hidden_hostcall_buffer
    .group_segment_fixed_size: 0
    .kernarg_segment_align: 8
    .kernarg_segment_size: 296
    .language:       OpenCL C
    .language_version:
      - 2
      - 0
    .max_flat_workgroup_size: 1024
    .name:           _ZN5aiter32wv_splitk_small_fp16_bf16_kernelI14__hip_bfloat16Li64ELi1ELi1ELi8ELi4ELi3EEEviiPKT_S4_PS2_ii
    .private_segment_fixed_size: 64
    .sgpr_count:     36
    .sgpr_spill_count: 0
    .symbol:         _ZN5aiter32wv_splitk_small_fp16_bf16_kernelI14__hip_bfloat16Li64ELi1ELi1ELi8ELi4ELi3EEEviiPKT_S4_PS2_ii.kd
    .uniform_work_group_size: 1
    .uses_dynamic_stack: false
    .vgpr_count:     50
    .vgpr_spill_count: 0
    .wavefront_size: 32
    .workgroup_processor_mode: 1
  - .args:
      - .offset:         0
        .size:           4
        .value_kind:     by_value
      - .offset:         4
        .size:           4
        .value_kind:     by_value
      - .address_space:  global
        .offset:         8
        .size:           8
        .value_kind:     global_buffer
      - .actual_access:  read_only
        .address_space:  global
        .offset:         16
        .size:           8
        .value_kind:     global_buffer
      - .address_space:  global
        .offset:         24
        .size:           8
        .value_kind:     global_buffer
      - .offset:         32
        .size:           4
        .value_kind:     by_value
      - .offset:         36
        .size:           4
        .value_kind:     by_value
      - .offset:         40
        .size:           4
        .value_kind:     hidden_block_count_x
      - .offset:         44
        .size:           4
        .value_kind:     hidden_block_count_y
      - .offset:         48
        .size:           4
        .value_kind:     hidden_block_count_z
      - .offset:         52
        .size:           2
        .value_kind:     hidden_group_size_x
      - .offset:         54
        .size:           2
        .value_kind:     hidden_group_size_y
      - .offset:         56
        .size:           2
        .value_kind:     hidden_group_size_z
      - .offset:         58
        .size:           2
        .value_kind:     hidden_remainder_x
      - .offset:         60
        .size:           2
        .value_kind:     hidden_remainder_y
      - .offset:         62
        .size:           2
        .value_kind:     hidden_remainder_z
      - .offset:         80
        .size:           8
        .value_kind:     hidden_global_offset_x
      - .offset:         88
        .size:           8
        .value_kind:     hidden_global_offset_y
      - .offset:         96
        .size:           8
        .value_kind:     hidden_global_offset_z
      - .offset:         104
        .size:           2
        .value_kind:     hidden_grid_dims
      - .offset:         120
        .size:           8
        .value_kind:     hidden_hostcall_buffer
    .group_segment_fixed_size: 0
    .kernarg_segment_align: 8
    .kernarg_segment_size: 296
    .language:       OpenCL C
    .language_version:
      - 2
      - 0
    .max_flat_workgroup_size: 1024
    .name:           _ZN5aiter32wv_splitk_small_fp16_bf16_kernelI14__hip_bfloat16Li64ELi1ELi1ELi8ELi4ELi4EEEviiPKT_S4_PS2_ii
    .private_segment_fixed_size: 64
    .sgpr_count:     36
    .sgpr_spill_count: 0
    .symbol:         _ZN5aiter32wv_splitk_small_fp16_bf16_kernelI14__hip_bfloat16Li64ELi1ELi1ELi8ELi4ELi4EEEviiPKT_S4_PS2_ii.kd
    .uniform_work_group_size: 1
    .uses_dynamic_stack: false
    .vgpr_count:     50
    .vgpr_spill_count: 0
    .wavefront_size: 32
    .workgroup_processor_mode: 1
  - .args:
      - .offset:         0
        .size:           4
        .value_kind:     by_value
      - .offset:         4
        .size:           4
        .value_kind:     by_value
      - .address_space:  global
        .offset:         8
        .size:           8
        .value_kind:     global_buffer
      - .actual_access:  read_only
        .address_space:  global
        .offset:         16
        .size:           8
        .value_kind:     global_buffer
      - .address_space:  global
        .offset:         24
        .size:           8
        .value_kind:     global_buffer
      - .offset:         32
        .size:           4
        .value_kind:     by_value
      - .offset:         36
        .size:           4
        .value_kind:     by_value
      - .offset:         40
        .size:           4
        .value_kind:     hidden_block_count_x
      - .offset:         44
        .size:           4
        .value_kind:     hidden_block_count_y
      - .offset:         48
        .size:           4
        .value_kind:     hidden_block_count_z
      - .offset:         52
        .size:           2
        .value_kind:     hidden_group_size_x
      - .offset:         54
        .size:           2
        .value_kind:     hidden_group_size_y
      - .offset:         56
        .size:           2
        .value_kind:     hidden_group_size_z
      - .offset:         58
        .size:           2
        .value_kind:     hidden_remainder_x
      - .offset:         60
        .size:           2
        .value_kind:     hidden_remainder_y
      - .offset:         62
        .size:           2
        .value_kind:     hidden_remainder_z
      - .offset:         80
        .size:           8
        .value_kind:     hidden_global_offset_x
      - .offset:         88
        .size:           8
        .value_kind:     hidden_global_offset_y
      - .offset:         96
        .size:           8
        .value_kind:     hidden_global_offset_z
      - .offset:         104
        .size:           2
        .value_kind:     hidden_grid_dims
      - .offset:         120
        .size:           8
        .value_kind:     hidden_hostcall_buffer
    .group_segment_fixed_size: 0
    .kernarg_segment_align: 8
    .kernarg_segment_size: 296
    .language:       OpenCL C
    .language_version:
      - 2
      - 0
    .max_flat_workgroup_size: 1024
    .name:           _ZN5aiter32wv_splitk_small_fp16_bf16_kernelI14__hip_bfloat16Li64ELi1ELi1ELi8ELi4ELi5EEEviiPKT_S4_PS2_ii
    .private_segment_fixed_size: 64
    .sgpr_count:     36
    .sgpr_spill_count: 0
    .symbol:         _ZN5aiter32wv_splitk_small_fp16_bf16_kernelI14__hip_bfloat16Li64ELi1ELi1ELi8ELi4ELi5EEEviiPKT_S4_PS2_ii.kd
    .uniform_work_group_size: 1
    .uses_dynamic_stack: false
    .vgpr_count:     50
    .vgpr_spill_count: 0
    .wavefront_size: 32
    .workgroup_processor_mode: 1
  - .args:
      - .offset:         0
        .size:           4
        .value_kind:     by_value
      - .offset:         4
        .size:           4
        .value_kind:     by_value
      - .address_space:  global
        .offset:         8
        .size:           8
        .value_kind:     global_buffer
      - .actual_access:  read_only
        .address_space:  global
        .offset:         16
        .size:           8
        .value_kind:     global_buffer
      - .address_space:  global
        .offset:         24
        .size:           8
        .value_kind:     global_buffer
      - .offset:         32
        .size:           4
        .value_kind:     by_value
      - .offset:         36
        .size:           4
        .value_kind:     by_value
      - .offset:         40
        .size:           4
        .value_kind:     hidden_block_count_x
      - .offset:         44
        .size:           4
        .value_kind:     hidden_block_count_y
      - .offset:         48
        .size:           4
        .value_kind:     hidden_block_count_z
      - .offset:         52
        .size:           2
        .value_kind:     hidden_group_size_x
      - .offset:         54
        .size:           2
        .value_kind:     hidden_group_size_y
      - .offset:         56
        .size:           2
        .value_kind:     hidden_group_size_z
      - .offset:         58
        .size:           2
        .value_kind:     hidden_remainder_x
      - .offset:         60
        .size:           2
        .value_kind:     hidden_remainder_y
      - .offset:         62
        .size:           2
        .value_kind:     hidden_remainder_z
      - .offset:         80
        .size:           8
        .value_kind:     hidden_global_offset_x
      - .offset:         88
        .size:           8
        .value_kind:     hidden_global_offset_y
      - .offset:         96
        .size:           8
        .value_kind:     hidden_global_offset_z
      - .offset:         104
        .size:           2
        .value_kind:     hidden_grid_dims
      - .offset:         120
        .size:           8
        .value_kind:     hidden_hostcall_buffer
    .group_segment_fixed_size: 0
    .kernarg_segment_align: 8
    .kernarg_segment_size: 296
    .language:       OpenCL C
    .language_version:
      - 2
      - 0
    .max_flat_workgroup_size: 1024
    .name:           _ZN5aiter32wv_splitk_small_fp16_bf16_kernelI14__hip_bfloat16Li64ELi1ELi1ELi8ELi4ELi6EEEviiPKT_S4_PS2_ii
    .private_segment_fixed_size: 64
    .sgpr_count:     36
    .sgpr_spill_count: 0
    .symbol:         _ZN5aiter32wv_splitk_small_fp16_bf16_kernelI14__hip_bfloat16Li64ELi1ELi1ELi8ELi4ELi6EEEviiPKT_S4_PS2_ii.kd
    .uniform_work_group_size: 1
    .uses_dynamic_stack: false
    .vgpr_count:     50
    .vgpr_spill_count: 0
    .wavefront_size: 32
    .workgroup_processor_mode: 1
  - .args:
      - .offset:         0
        .size:           4
        .value_kind:     by_value
      - .offset:         4
        .size:           4
        .value_kind:     by_value
      - .address_space:  global
        .offset:         8
        .size:           8
        .value_kind:     global_buffer
      - .actual_access:  read_only
        .address_space:  global
        .offset:         16
        .size:           8
        .value_kind:     global_buffer
      - .address_space:  global
        .offset:         24
        .size:           8
        .value_kind:     global_buffer
      - .offset:         32
        .size:           4
        .value_kind:     by_value
      - .offset:         36
        .size:           4
        .value_kind:     by_value
      - .offset:         40
        .size:           4
        .value_kind:     hidden_block_count_x
      - .offset:         44
        .size:           4
        .value_kind:     hidden_block_count_y
      - .offset:         48
        .size:           4
        .value_kind:     hidden_block_count_z
      - .offset:         52
        .size:           2
        .value_kind:     hidden_group_size_x
      - .offset:         54
        .size:           2
        .value_kind:     hidden_group_size_y
      - .offset:         56
        .size:           2
        .value_kind:     hidden_group_size_z
      - .offset:         58
        .size:           2
        .value_kind:     hidden_remainder_x
      - .offset:         60
        .size:           2
        .value_kind:     hidden_remainder_y
      - .offset:         62
        .size:           2
        .value_kind:     hidden_remainder_z
      - .offset:         80
        .size:           8
        .value_kind:     hidden_global_offset_x
      - .offset:         88
        .size:           8
        .value_kind:     hidden_global_offset_y
      - .offset:         96
        .size:           8
        .value_kind:     hidden_global_offset_z
      - .offset:         104
        .size:           2
        .value_kind:     hidden_grid_dims
      - .offset:         120
        .size:           8
        .value_kind:     hidden_hostcall_buffer
    .group_segment_fixed_size: 0
    .kernarg_segment_align: 8
    .kernarg_segment_size: 296
    .language:       OpenCL C
    .language_version:
      - 2
      - 0
    .max_flat_workgroup_size: 1024
    .name:           _ZN5aiter32wv_splitk_small_fp16_bf16_kernelI14__hip_bfloat16Li64ELi1ELi1ELi8ELi4ELi7EEEviiPKT_S4_PS2_ii
    .private_segment_fixed_size: 64
    .sgpr_count:     36
    .sgpr_spill_count: 0
    .symbol:         _ZN5aiter32wv_splitk_small_fp16_bf16_kernelI14__hip_bfloat16Li64ELi1ELi1ELi8ELi4ELi7EEEviiPKT_S4_PS2_ii.kd
    .uniform_work_group_size: 1
    .uses_dynamic_stack: false
    .vgpr_count:     50
    .vgpr_spill_count: 0
    .wavefront_size: 32
    .workgroup_processor_mode: 1
  - .args:
      - .offset:         0
        .size:           4
        .value_kind:     by_value
      - .offset:         4
        .size:           4
        .value_kind:     by_value
      - .address_space:  global
        .offset:         8
        .size:           8
        .value_kind:     global_buffer
      - .actual_access:  read_only
        .address_space:  global
        .offset:         16
        .size:           8
        .value_kind:     global_buffer
      - .address_space:  global
        .offset:         24
        .size:           8
        .value_kind:     global_buffer
      - .offset:         32
        .size:           4
        .value_kind:     by_value
      - .offset:         36
        .size:           4
        .value_kind:     by_value
      - .offset:         40
        .size:           4
        .value_kind:     hidden_block_count_x
      - .offset:         44
        .size:           4
        .value_kind:     hidden_block_count_y
      - .offset:         48
        .size:           4
        .value_kind:     hidden_block_count_z
      - .offset:         52
        .size:           2
        .value_kind:     hidden_group_size_x
      - .offset:         54
        .size:           2
        .value_kind:     hidden_group_size_y
      - .offset:         56
        .size:           2
        .value_kind:     hidden_group_size_z
      - .offset:         58
        .size:           2
        .value_kind:     hidden_remainder_x
      - .offset:         60
        .size:           2
        .value_kind:     hidden_remainder_y
      - .offset:         62
        .size:           2
        .value_kind:     hidden_remainder_z
      - .offset:         80
        .size:           8
        .value_kind:     hidden_global_offset_x
      - .offset:         88
        .size:           8
        .value_kind:     hidden_global_offset_y
      - .offset:         96
        .size:           8
        .value_kind:     hidden_global_offset_z
      - .offset:         104
        .size:           2
        .value_kind:     hidden_grid_dims
      - .offset:         120
        .size:           8
        .value_kind:     hidden_hostcall_buffer
    .group_segment_fixed_size: 0
    .kernarg_segment_align: 8
    .kernarg_segment_size: 296
    .language:       OpenCL C
    .language_version:
      - 2
      - 0
    .max_flat_workgroup_size: 1024
    .name:           _ZN5aiter32wv_splitk_small_fp16_bf16_kernelI14__hip_bfloat16Li64ELi1ELi1ELi8ELi4ELi8EEEviiPKT_S4_PS2_ii
    .private_segment_fixed_size: 64
    .sgpr_count:     36
    .sgpr_spill_count: 0
    .symbol:         _ZN5aiter32wv_splitk_small_fp16_bf16_kernelI14__hip_bfloat16Li64ELi1ELi1ELi8ELi4ELi8EEEviiPKT_S4_PS2_ii.kd
    .uniform_work_group_size: 1
    .uses_dynamic_stack: false
    .vgpr_count:     50
    .vgpr_spill_count: 0
    .wavefront_size: 32
    .workgroup_processor_mode: 1
  - .args:
      - .offset:         0
        .size:           4
        .value_kind:     by_value
      - .offset:         4
        .size:           4
        .value_kind:     by_value
      - .address_space:  global
        .offset:         8
        .size:           8
        .value_kind:     global_buffer
      - .actual_access:  read_only
        .address_space:  global
        .offset:         16
        .size:           8
        .value_kind:     global_buffer
      - .address_space:  global
        .offset:         24
        .size:           8
        .value_kind:     global_buffer
      - .offset:         32
        .size:           4
        .value_kind:     by_value
      - .offset:         36
        .size:           4
        .value_kind:     by_value
      - .offset:         40
        .size:           4
        .value_kind:     hidden_block_count_x
      - .offset:         44
        .size:           4
        .value_kind:     hidden_block_count_y
      - .offset:         48
        .size:           4
        .value_kind:     hidden_block_count_z
      - .offset:         52
        .size:           2
        .value_kind:     hidden_group_size_x
      - .offset:         54
        .size:           2
        .value_kind:     hidden_group_size_y
      - .offset:         56
        .size:           2
        .value_kind:     hidden_group_size_z
      - .offset:         58
        .size:           2
        .value_kind:     hidden_remainder_x
      - .offset:         60
        .size:           2
        .value_kind:     hidden_remainder_y
      - .offset:         62
        .size:           2
        .value_kind:     hidden_remainder_z
      - .offset:         80
        .size:           8
        .value_kind:     hidden_global_offset_x
      - .offset:         88
        .size:           8
        .value_kind:     hidden_global_offset_y
      - .offset:         96
        .size:           8
        .value_kind:     hidden_global_offset_z
      - .offset:         104
        .size:           2
        .value_kind:     hidden_grid_dims
      - .offset:         120
        .size:           8
        .value_kind:     hidden_hostcall_buffer
    .group_segment_fixed_size: 0
    .kernarg_segment_align: 8
    .kernarg_segment_size: 296
    .language:       OpenCL C
    .language_version:
      - 2
      - 0
    .max_flat_workgroup_size: 1024
    .name:           _ZN5aiter32wv_splitk_small_fp16_bf16_kernelI14__hip_bfloat16Li64ELi1ELi1ELi8ELi4ELi9EEEviiPKT_S4_PS2_ii
    .private_segment_fixed_size: 64
    .sgpr_count:     36
    .sgpr_spill_count: 0
    .symbol:         _ZN5aiter32wv_splitk_small_fp16_bf16_kernelI14__hip_bfloat16Li64ELi1ELi1ELi8ELi4ELi9EEEviiPKT_S4_PS2_ii.kd
    .uniform_work_group_size: 1
    .uses_dynamic_stack: false
    .vgpr_count:     50
    .vgpr_spill_count: 0
    .wavefront_size: 32
    .workgroup_processor_mode: 1
  - .args:
      - .offset:         0
        .size:           4
        .value_kind:     by_value
      - .offset:         4
        .size:           4
        .value_kind:     by_value
      - .address_space:  global
        .offset:         8
        .size:           8
        .value_kind:     global_buffer
      - .actual_access:  read_only
        .address_space:  global
        .offset:         16
        .size:           8
        .value_kind:     global_buffer
      - .address_space:  global
        .offset:         24
        .size:           8
        .value_kind:     global_buffer
      - .offset:         32
        .size:           4
        .value_kind:     by_value
      - .offset:         36
        .size:           4
        .value_kind:     by_value
      - .offset:         40
        .size:           4
        .value_kind:     hidden_block_count_x
      - .offset:         44
        .size:           4
        .value_kind:     hidden_block_count_y
      - .offset:         48
        .size:           4
        .value_kind:     hidden_block_count_z
      - .offset:         52
        .size:           2
        .value_kind:     hidden_group_size_x
      - .offset:         54
        .size:           2
        .value_kind:     hidden_group_size_y
      - .offset:         56
        .size:           2
        .value_kind:     hidden_group_size_z
      - .offset:         58
        .size:           2
        .value_kind:     hidden_remainder_x
      - .offset:         60
        .size:           2
        .value_kind:     hidden_remainder_y
      - .offset:         62
        .size:           2
        .value_kind:     hidden_remainder_z
      - .offset:         80
        .size:           8
        .value_kind:     hidden_global_offset_x
      - .offset:         88
        .size:           8
        .value_kind:     hidden_global_offset_y
      - .offset:         96
        .size:           8
        .value_kind:     hidden_global_offset_z
      - .offset:         104
        .size:           2
        .value_kind:     hidden_grid_dims
      - .offset:         120
        .size:           8
        .value_kind:     hidden_hostcall_buffer
    .group_segment_fixed_size: 0
    .kernarg_segment_align: 8
    .kernarg_segment_size: 296
    .language:       OpenCL C
    .language_version:
      - 2
      - 0
    .max_flat_workgroup_size: 1024
    .name:           _ZN5aiter32wv_splitk_small_fp16_bf16_kernelI14__hip_bfloat16Li64ELi1ELi1ELi8ELi4ELi10EEEviiPKT_S4_PS2_ii
    .private_segment_fixed_size: 64
    .sgpr_count:     36
    .sgpr_spill_count: 0
    .symbol:         _ZN5aiter32wv_splitk_small_fp16_bf16_kernelI14__hip_bfloat16Li64ELi1ELi1ELi8ELi4ELi10EEEviiPKT_S4_PS2_ii.kd
    .uniform_work_group_size: 1
    .uses_dynamic_stack: false
    .vgpr_count:     50
    .vgpr_spill_count: 0
    .wavefront_size: 32
    .workgroup_processor_mode: 1
  - .args:
      - .offset:         0
        .size:           4
        .value_kind:     by_value
      - .offset:         4
        .size:           4
        .value_kind:     by_value
      - .address_space:  global
        .offset:         8
        .size:           8
        .value_kind:     global_buffer
      - .actual_access:  read_only
        .address_space:  global
        .offset:         16
        .size:           8
        .value_kind:     global_buffer
      - .address_space:  global
        .offset:         24
        .size:           8
        .value_kind:     global_buffer
      - .offset:         32
        .size:           4
        .value_kind:     by_value
      - .offset:         36
        .size:           4
        .value_kind:     by_value
      - .offset:         40
        .size:           4
        .value_kind:     hidden_block_count_x
      - .offset:         44
        .size:           4
        .value_kind:     hidden_block_count_y
      - .offset:         48
        .size:           4
        .value_kind:     hidden_block_count_z
      - .offset:         52
        .size:           2
        .value_kind:     hidden_group_size_x
      - .offset:         54
        .size:           2
        .value_kind:     hidden_group_size_y
      - .offset:         56
        .size:           2
        .value_kind:     hidden_group_size_z
      - .offset:         58
        .size:           2
        .value_kind:     hidden_remainder_x
      - .offset:         60
        .size:           2
        .value_kind:     hidden_remainder_y
      - .offset:         62
        .size:           2
        .value_kind:     hidden_remainder_z
      - .offset:         80
        .size:           8
        .value_kind:     hidden_global_offset_x
      - .offset:         88
        .size:           8
        .value_kind:     hidden_global_offset_y
      - .offset:         96
        .size:           8
        .value_kind:     hidden_global_offset_z
      - .offset:         104
        .size:           2
        .value_kind:     hidden_grid_dims
      - .offset:         120
        .size:           8
        .value_kind:     hidden_hostcall_buffer
    .group_segment_fixed_size: 0
    .kernarg_segment_align: 8
    .kernarg_segment_size: 296
    .language:       OpenCL C
    .language_version:
      - 2
      - 0
    .max_flat_workgroup_size: 1024
    .name:           _ZN5aiter32wv_splitk_small_fp16_bf16_kernelI14__hip_bfloat16Li64ELi1ELi1ELi8ELi4ELi11EEEviiPKT_S4_PS2_ii
    .private_segment_fixed_size: 64
    .sgpr_count:     36
    .sgpr_spill_count: 0
    .symbol:         _ZN5aiter32wv_splitk_small_fp16_bf16_kernelI14__hip_bfloat16Li64ELi1ELi1ELi8ELi4ELi11EEEviiPKT_S4_PS2_ii.kd
    .uniform_work_group_size: 1
    .uses_dynamic_stack: false
    .vgpr_count:     50
    .vgpr_spill_count: 0
    .wavefront_size: 32
    .workgroup_processor_mode: 1
  - .args:
      - .offset:         0
        .size:           4
        .value_kind:     by_value
      - .offset:         4
        .size:           4
        .value_kind:     by_value
      - .address_space:  global
        .offset:         8
        .size:           8
        .value_kind:     global_buffer
      - .actual_access:  read_only
        .address_space:  global
        .offset:         16
        .size:           8
        .value_kind:     global_buffer
      - .address_space:  global
        .offset:         24
        .size:           8
        .value_kind:     global_buffer
      - .offset:         32
        .size:           4
        .value_kind:     by_value
      - .offset:         36
        .size:           4
        .value_kind:     by_value
      - .offset:         40
        .size:           4
        .value_kind:     hidden_block_count_x
      - .offset:         44
        .size:           4
        .value_kind:     hidden_block_count_y
      - .offset:         48
        .size:           4
        .value_kind:     hidden_block_count_z
      - .offset:         52
        .size:           2
        .value_kind:     hidden_group_size_x
      - .offset:         54
        .size:           2
        .value_kind:     hidden_group_size_y
      - .offset:         56
        .size:           2
        .value_kind:     hidden_group_size_z
      - .offset:         58
        .size:           2
        .value_kind:     hidden_remainder_x
      - .offset:         60
        .size:           2
        .value_kind:     hidden_remainder_y
      - .offset:         62
        .size:           2
        .value_kind:     hidden_remainder_z
      - .offset:         80
        .size:           8
        .value_kind:     hidden_global_offset_x
      - .offset:         88
        .size:           8
        .value_kind:     hidden_global_offset_y
      - .offset:         96
        .size:           8
        .value_kind:     hidden_global_offset_z
      - .offset:         104
        .size:           2
        .value_kind:     hidden_grid_dims
      - .offset:         120
        .size:           8
        .value_kind:     hidden_hostcall_buffer
    .group_segment_fixed_size: 0
    .kernarg_segment_align: 8
    .kernarg_segment_size: 296
    .language:       OpenCL C
    .language_version:
      - 2
      - 0
    .max_flat_workgroup_size: 1024
    .name:           _ZN5aiter32wv_splitk_small_fp16_bf16_kernelI14__hip_bfloat16Li64ELi1ELi1ELi8ELi4ELi12EEEviiPKT_S4_PS2_ii
    .private_segment_fixed_size: 64
    .sgpr_count:     36
    .sgpr_spill_count: 0
    .symbol:         _ZN5aiter32wv_splitk_small_fp16_bf16_kernelI14__hip_bfloat16Li64ELi1ELi1ELi8ELi4ELi12EEEviiPKT_S4_PS2_ii.kd
    .uniform_work_group_size: 1
    .uses_dynamic_stack: false
    .vgpr_count:     50
    .vgpr_spill_count: 0
    .wavefront_size: 32
    .workgroup_processor_mode: 1
  - .args:
      - .offset:         0
        .size:           4
        .value_kind:     by_value
      - .offset:         4
        .size:           4
        .value_kind:     by_value
      - .address_space:  global
        .offset:         8
        .size:           8
        .value_kind:     global_buffer
      - .actual_access:  read_only
        .address_space:  global
        .offset:         16
        .size:           8
        .value_kind:     global_buffer
      - .address_space:  global
        .offset:         24
        .size:           8
        .value_kind:     global_buffer
      - .offset:         32
        .size:           4
        .value_kind:     by_value
      - .offset:         36
        .size:           4
        .value_kind:     by_value
      - .offset:         40
        .size:           4
        .value_kind:     hidden_block_count_x
      - .offset:         44
        .size:           4
        .value_kind:     hidden_block_count_y
      - .offset:         48
        .size:           4
        .value_kind:     hidden_block_count_z
      - .offset:         52
        .size:           2
        .value_kind:     hidden_group_size_x
      - .offset:         54
        .size:           2
        .value_kind:     hidden_group_size_y
      - .offset:         56
        .size:           2
        .value_kind:     hidden_group_size_z
      - .offset:         58
        .size:           2
        .value_kind:     hidden_remainder_x
      - .offset:         60
        .size:           2
        .value_kind:     hidden_remainder_y
      - .offset:         62
        .size:           2
        .value_kind:     hidden_remainder_z
      - .offset:         80
        .size:           8
        .value_kind:     hidden_global_offset_x
      - .offset:         88
        .size:           8
        .value_kind:     hidden_global_offset_y
      - .offset:         96
        .size:           8
        .value_kind:     hidden_global_offset_z
      - .offset:         104
        .size:           2
        .value_kind:     hidden_grid_dims
      - .offset:         120
        .size:           8
        .value_kind:     hidden_hostcall_buffer
    .group_segment_fixed_size: 0
    .kernarg_segment_align: 8
    .kernarg_segment_size: 296
    .language:       OpenCL C
    .language_version:
      - 2
      - 0
    .max_flat_workgroup_size: 1024
    .name:           _ZN5aiter32wv_splitk_small_fp16_bf16_kernelI14__hip_bfloat16Li64ELi1ELi1ELi8ELi4ELi13EEEviiPKT_S4_PS2_ii
    .private_segment_fixed_size: 64
    .sgpr_count:     36
    .sgpr_spill_count: 0
    .symbol:         _ZN5aiter32wv_splitk_small_fp16_bf16_kernelI14__hip_bfloat16Li64ELi1ELi1ELi8ELi4ELi13EEEviiPKT_S4_PS2_ii.kd
    .uniform_work_group_size: 1
    .uses_dynamic_stack: false
    .vgpr_count:     50
    .vgpr_spill_count: 0
    .wavefront_size: 32
    .workgroup_processor_mode: 1
  - .args:
      - .offset:         0
        .size:           4
        .value_kind:     by_value
      - .offset:         4
        .size:           4
        .value_kind:     by_value
      - .address_space:  global
        .offset:         8
        .size:           8
        .value_kind:     global_buffer
      - .actual_access:  read_only
        .address_space:  global
        .offset:         16
        .size:           8
        .value_kind:     global_buffer
      - .address_space:  global
        .offset:         24
        .size:           8
        .value_kind:     global_buffer
      - .offset:         32
        .size:           4
        .value_kind:     by_value
      - .offset:         36
        .size:           4
        .value_kind:     by_value
      - .offset:         40
        .size:           4
        .value_kind:     hidden_block_count_x
      - .offset:         44
        .size:           4
        .value_kind:     hidden_block_count_y
      - .offset:         48
        .size:           4
        .value_kind:     hidden_block_count_z
      - .offset:         52
        .size:           2
        .value_kind:     hidden_group_size_x
      - .offset:         54
        .size:           2
        .value_kind:     hidden_group_size_y
      - .offset:         56
        .size:           2
        .value_kind:     hidden_group_size_z
      - .offset:         58
        .size:           2
        .value_kind:     hidden_remainder_x
      - .offset:         60
        .size:           2
        .value_kind:     hidden_remainder_y
      - .offset:         62
        .size:           2
        .value_kind:     hidden_remainder_z
      - .offset:         80
        .size:           8
        .value_kind:     hidden_global_offset_x
      - .offset:         88
        .size:           8
        .value_kind:     hidden_global_offset_y
      - .offset:         96
        .size:           8
        .value_kind:     hidden_global_offset_z
      - .offset:         104
        .size:           2
        .value_kind:     hidden_grid_dims
      - .offset:         120
        .size:           8
        .value_kind:     hidden_hostcall_buffer
    .group_segment_fixed_size: 0
    .kernarg_segment_align: 8
    .kernarg_segment_size: 296
    .language:       OpenCL C
    .language_version:
      - 2
      - 0
    .max_flat_workgroup_size: 1024
    .name:           _ZN5aiter32wv_splitk_small_fp16_bf16_kernelI14__hip_bfloat16Li64ELi1ELi1ELi8ELi4ELi14EEEviiPKT_S4_PS2_ii
    .private_segment_fixed_size: 64
    .sgpr_count:     36
    .sgpr_spill_count: 0
    .symbol:         _ZN5aiter32wv_splitk_small_fp16_bf16_kernelI14__hip_bfloat16Li64ELi1ELi1ELi8ELi4ELi14EEEviiPKT_S4_PS2_ii.kd
    .uniform_work_group_size: 1
    .uses_dynamic_stack: false
    .vgpr_count:     50
    .vgpr_spill_count: 0
    .wavefront_size: 32
    .workgroup_processor_mode: 1
  - .args:
      - .offset:         0
        .size:           4
        .value_kind:     by_value
      - .offset:         4
        .size:           4
        .value_kind:     by_value
      - .address_space:  global
        .offset:         8
        .size:           8
        .value_kind:     global_buffer
      - .actual_access:  read_only
        .address_space:  global
        .offset:         16
        .size:           8
        .value_kind:     global_buffer
      - .address_space:  global
        .offset:         24
        .size:           8
        .value_kind:     global_buffer
      - .offset:         32
        .size:           4
        .value_kind:     by_value
      - .offset:         36
        .size:           4
        .value_kind:     by_value
      - .offset:         40
        .size:           4
        .value_kind:     hidden_block_count_x
      - .offset:         44
        .size:           4
        .value_kind:     hidden_block_count_y
      - .offset:         48
        .size:           4
        .value_kind:     hidden_block_count_z
      - .offset:         52
        .size:           2
        .value_kind:     hidden_group_size_x
      - .offset:         54
        .size:           2
        .value_kind:     hidden_group_size_y
      - .offset:         56
        .size:           2
        .value_kind:     hidden_group_size_z
      - .offset:         58
        .size:           2
        .value_kind:     hidden_remainder_x
      - .offset:         60
        .size:           2
        .value_kind:     hidden_remainder_y
      - .offset:         62
        .size:           2
        .value_kind:     hidden_remainder_z
      - .offset:         80
        .size:           8
        .value_kind:     hidden_global_offset_x
      - .offset:         88
        .size:           8
        .value_kind:     hidden_global_offset_y
      - .offset:         96
        .size:           8
        .value_kind:     hidden_global_offset_z
      - .offset:         104
        .size:           2
        .value_kind:     hidden_grid_dims
      - .offset:         120
        .size:           8
        .value_kind:     hidden_hostcall_buffer
    .group_segment_fixed_size: 0
    .kernarg_segment_align: 8
    .kernarg_segment_size: 296
    .language:       OpenCL C
    .language_version:
      - 2
      - 0
    .max_flat_workgroup_size: 1024
    .name:           _ZN5aiter32wv_splitk_small_fp16_bf16_kernelI14__hip_bfloat16Li64ELi1ELi1ELi8ELi4ELi15EEEviiPKT_S4_PS2_ii
    .private_segment_fixed_size: 64
    .sgpr_count:     36
    .sgpr_spill_count: 0
    .symbol:         _ZN5aiter32wv_splitk_small_fp16_bf16_kernelI14__hip_bfloat16Li64ELi1ELi1ELi8ELi4ELi15EEEviiPKT_S4_PS2_ii.kd
    .uniform_work_group_size: 1
    .uses_dynamic_stack: false
    .vgpr_count:     50
    .vgpr_spill_count: 0
    .wavefront_size: 32
    .workgroup_processor_mode: 1
  - .args:
      - .offset:         0
        .size:           4
        .value_kind:     by_value
      - .offset:         4
        .size:           4
        .value_kind:     by_value
      - .address_space:  global
        .offset:         8
        .size:           8
        .value_kind:     global_buffer
      - .actual_access:  read_only
        .address_space:  global
        .offset:         16
        .size:           8
        .value_kind:     global_buffer
      - .address_space:  global
        .offset:         24
        .size:           8
        .value_kind:     global_buffer
      - .offset:         32
        .size:           4
        .value_kind:     by_value
      - .offset:         36
        .size:           4
        .value_kind:     by_value
      - .offset:         40
        .size:           4
        .value_kind:     hidden_block_count_x
      - .offset:         44
        .size:           4
        .value_kind:     hidden_block_count_y
      - .offset:         48
        .size:           4
        .value_kind:     hidden_block_count_z
      - .offset:         52
        .size:           2
        .value_kind:     hidden_group_size_x
      - .offset:         54
        .size:           2
        .value_kind:     hidden_group_size_y
      - .offset:         56
        .size:           2
        .value_kind:     hidden_group_size_z
      - .offset:         58
        .size:           2
        .value_kind:     hidden_remainder_x
      - .offset:         60
        .size:           2
        .value_kind:     hidden_remainder_y
      - .offset:         62
        .size:           2
        .value_kind:     hidden_remainder_z
      - .offset:         80
        .size:           8
        .value_kind:     hidden_global_offset_x
      - .offset:         88
        .size:           8
        .value_kind:     hidden_global_offset_y
      - .offset:         96
        .size:           8
        .value_kind:     hidden_global_offset_z
      - .offset:         104
        .size:           2
        .value_kind:     hidden_grid_dims
      - .offset:         120
        .size:           8
        .value_kind:     hidden_hostcall_buffer
    .group_segment_fixed_size: 0
    .kernarg_segment_align: 8
    .kernarg_segment_size: 296
    .language:       OpenCL C
    .language_version:
      - 2
      - 0
    .max_flat_workgroup_size: 1024
    .name:           _ZN5aiter32wv_splitk_small_fp16_bf16_kernelI14__hip_bfloat16Li64ELi1ELi1ELi8ELi4ELi16EEEviiPKT_S4_PS2_ii
    .private_segment_fixed_size: 64
    .sgpr_count:     36
    .sgpr_spill_count: 0
    .symbol:         _ZN5aiter32wv_splitk_small_fp16_bf16_kernelI14__hip_bfloat16Li64ELi1ELi1ELi8ELi4ELi16EEEviiPKT_S4_PS2_ii.kd
    .uniform_work_group_size: 1
    .uses_dynamic_stack: false
    .vgpr_count:     50
    .vgpr_spill_count: 0
    .wavefront_size: 32
    .workgroup_processor_mode: 1
  - .args:
      - .offset:         0
        .size:           4
        .value_kind:     by_value
      - .offset:         4
        .size:           4
        .value_kind:     by_value
      - .address_space:  global
        .offset:         8
        .size:           8
        .value_kind:     global_buffer
      - .actual_access:  read_only
        .address_space:  global
        .offset:         16
        .size:           8
        .value_kind:     global_buffer
      - .address_space:  global
        .offset:         24
        .size:           8
        .value_kind:     global_buffer
      - .offset:         32
        .size:           4
        .value_kind:     by_value
      - .offset:         36
        .size:           4
        .value_kind:     by_value
      - .offset:         40
        .size:           4
        .value_kind:     hidden_block_count_x
      - .offset:         44
        .size:           4
        .value_kind:     hidden_block_count_y
      - .offset:         48
        .size:           4
        .value_kind:     hidden_block_count_z
      - .offset:         52
        .size:           2
        .value_kind:     hidden_group_size_x
      - .offset:         54
        .size:           2
        .value_kind:     hidden_group_size_y
      - .offset:         56
        .size:           2
        .value_kind:     hidden_group_size_z
      - .offset:         58
        .size:           2
        .value_kind:     hidden_remainder_x
      - .offset:         60
        .size:           2
        .value_kind:     hidden_remainder_y
      - .offset:         62
        .size:           2
        .value_kind:     hidden_remainder_z
      - .offset:         80
        .size:           8
        .value_kind:     hidden_global_offset_x
      - .offset:         88
        .size:           8
        .value_kind:     hidden_global_offset_y
      - .offset:         96
        .size:           8
        .value_kind:     hidden_global_offset_z
      - .offset:         104
        .size:           2
        .value_kind:     hidden_grid_dims
      - .offset:         120
        .size:           8
        .value_kind:     hidden_hostcall_buffer
    .group_segment_fixed_size: 0
    .kernarg_segment_align: 8
    .kernarg_segment_size: 296
    .language:       OpenCL C
    .language_version:
      - 2
      - 0
    .max_flat_workgroup_size: 1024
    .name:           _ZN5aiter16wvSplitK_hf_sml_I6__halfLi64ELi2ELi16ELi8ELi2ELi1EEEviiPKT_S4_PS2_ii
    .private_segment_fixed_size: 64
    .sgpr_count:     36
    .sgpr_spill_count: 0
    .symbol:         _ZN5aiter16wvSplitK_hf_sml_I6__halfLi64ELi2ELi16ELi8ELi2ELi1EEEviiPKT_S4_PS2_ii.kd
    .uniform_work_group_size: 1
    .uses_dynamic_stack: false
    .vgpr_count:     50
    .vgpr_spill_count: 0
    .wavefront_size: 32
    .workgroup_processor_mode: 1
  - .args:
      - .offset:         0
        .size:           4
        .value_kind:     by_value
      - .offset:         4
        .size:           4
        .value_kind:     by_value
      - .address_space:  global
        .offset:         8
        .size:           8
        .value_kind:     global_buffer
      - .actual_access:  read_only
        .address_space:  global
        .offset:         16
        .size:           8
        .value_kind:     global_buffer
      - .address_space:  global
        .offset:         24
        .size:           8
        .value_kind:     global_buffer
      - .offset:         32
        .size:           4
        .value_kind:     by_value
      - .offset:         36
        .size:           4
        .value_kind:     by_value
      - .offset:         40
        .size:           4
        .value_kind:     hidden_block_count_x
      - .offset:         44
        .size:           4
        .value_kind:     hidden_block_count_y
      - .offset:         48
        .size:           4
        .value_kind:     hidden_block_count_z
      - .offset:         52
        .size:           2
        .value_kind:     hidden_group_size_x
      - .offset:         54
        .size:           2
        .value_kind:     hidden_group_size_y
      - .offset:         56
        .size:           2
        .value_kind:     hidden_group_size_z
      - .offset:         58
        .size:           2
        .value_kind:     hidden_remainder_x
      - .offset:         60
        .size:           2
        .value_kind:     hidden_remainder_y
      - .offset:         62
        .size:           2
        .value_kind:     hidden_remainder_z
      - .offset:         80
        .size:           8
        .value_kind:     hidden_global_offset_x
      - .offset:         88
        .size:           8
        .value_kind:     hidden_global_offset_y
      - .offset:         96
        .size:           8
        .value_kind:     hidden_global_offset_z
      - .offset:         104
        .size:           2
        .value_kind:     hidden_grid_dims
      - .offset:         120
        .size:           8
        .value_kind:     hidden_hostcall_buffer
    .group_segment_fixed_size: 0
    .kernarg_segment_align: 8
    .kernarg_segment_size: 296
    .language:       OpenCL C
    .language_version:
      - 2
      - 0
    .max_flat_workgroup_size: 1024
    .name:           _ZN5aiter12wvSplitK_hf_I6__halfLi64ELi2ELi16ELi8ELi2ELi1EEEviiPKT_S4_PS2_ii
    .private_segment_fixed_size: 64
    .sgpr_count:     36
    .sgpr_spill_count: 0
    .symbol:         _ZN5aiter12wvSplitK_hf_I6__halfLi64ELi2ELi16ELi8ELi2ELi1EEEviiPKT_S4_PS2_ii.kd
    .uniform_work_group_size: 1
    .uses_dynamic_stack: false
    .vgpr_count:     50
    .vgpr_spill_count: 0
    .wavefront_size: 32
    .workgroup_processor_mode: 1
  - .args:
      - .offset:         0
        .size:           4
        .value_kind:     by_value
      - .offset:         4
        .size:           4
        .value_kind:     by_value
      - .address_space:  global
        .offset:         8
        .size:           8
        .value_kind:     global_buffer
      - .actual_access:  read_only
        .address_space:  global
        .offset:         16
        .size:           8
        .value_kind:     global_buffer
      - .address_space:  global
        .offset:         24
        .size:           8
        .value_kind:     global_buffer
      - .offset:         32
        .size:           4
        .value_kind:     by_value
      - .offset:         36
        .size:           4
        .value_kind:     by_value
      - .offset:         40
        .size:           4
        .value_kind:     hidden_block_count_x
      - .offset:         44
        .size:           4
        .value_kind:     hidden_block_count_y
      - .offset:         48
        .size:           4
        .value_kind:     hidden_block_count_z
      - .offset:         52
        .size:           2
        .value_kind:     hidden_group_size_x
      - .offset:         54
        .size:           2
        .value_kind:     hidden_group_size_y
      - .offset:         56
        .size:           2
        .value_kind:     hidden_group_size_z
      - .offset:         58
        .size:           2
        .value_kind:     hidden_remainder_x
      - .offset:         60
        .size:           2
        .value_kind:     hidden_remainder_y
      - .offset:         62
        .size:           2
        .value_kind:     hidden_remainder_z
      - .offset:         80
        .size:           8
        .value_kind:     hidden_global_offset_x
      - .offset:         88
        .size:           8
        .value_kind:     hidden_global_offset_y
      - .offset:         96
        .size:           8
        .value_kind:     hidden_global_offset_z
      - .offset:         104
        .size:           2
        .value_kind:     hidden_grid_dims
      - .offset:         120
        .size:           8
        .value_kind:     hidden_hostcall_buffer
    .group_segment_fixed_size: 0
    .kernarg_segment_align: 8
    .kernarg_segment_size: 296
    .language:       OpenCL C
    .language_version:
      - 2
      - 0
    .max_flat_workgroup_size: 1024
    .name:           _ZN5aiter16wvSplitK_hf_big_I6__halfLi64ELi2ELi16ELi8ELi2ELi1EEEviiPKT_S4_PS2_ii
    .private_segment_fixed_size: 64
    .sgpr_count:     36
    .sgpr_spill_count: 0
    .symbol:         _ZN5aiter16wvSplitK_hf_big_I6__halfLi64ELi2ELi16ELi8ELi2ELi1EEEviiPKT_S4_PS2_ii.kd
    .uniform_work_group_size: 1
    .uses_dynamic_stack: false
    .vgpr_count:     50
    .vgpr_spill_count: 0
    .wavefront_size: 32
    .workgroup_processor_mode: 1
  - .args:
      - .offset:         0
        .size:           4
        .value_kind:     by_value
      - .offset:         4
        .size:           4
        .value_kind:     by_value
      - .address_space:  global
        .offset:         8
        .size:           8
        .value_kind:     global_buffer
      - .actual_access:  read_only
        .address_space:  global
        .offset:         16
        .size:           8
        .value_kind:     global_buffer
      - .address_space:  global
        .offset:         24
        .size:           8
        .value_kind:     global_buffer
      - .offset:         32
        .size:           4
        .value_kind:     by_value
      - .offset:         36
        .size:           4
        .value_kind:     by_value
      - .offset:         40
        .size:           4
        .value_kind:     hidden_block_count_x
      - .offset:         44
        .size:           4
        .value_kind:     hidden_block_count_y
      - .offset:         48
        .size:           4
        .value_kind:     hidden_block_count_z
      - .offset:         52
        .size:           2
        .value_kind:     hidden_group_size_x
      - .offset:         54
        .size:           2
        .value_kind:     hidden_group_size_y
      - .offset:         56
        .size:           2
        .value_kind:     hidden_group_size_z
      - .offset:         58
        .size:           2
        .value_kind:     hidden_remainder_x
      - .offset:         60
        .size:           2
        .value_kind:     hidden_remainder_y
      - .offset:         62
        .size:           2
        .value_kind:     hidden_remainder_z
      - .offset:         80
        .size:           8
        .value_kind:     hidden_global_offset_x
      - .offset:         88
        .size:           8
        .value_kind:     hidden_global_offset_y
      - .offset:         96
        .size:           8
        .value_kind:     hidden_global_offset_z
      - .offset:         104
        .size:           2
        .value_kind:     hidden_grid_dims
      - .offset:         120
        .size:           8
        .value_kind:     hidden_hostcall_buffer
    .group_segment_fixed_size: 0
    .kernarg_segment_align: 8
    .kernarg_segment_size: 296
    .language:       OpenCL C
    .language_version:
      - 2
      - 0
    .max_flat_workgroup_size: 1024
    .name:           _ZN5aiter16wvSplitK_hf_sml_I6__halfLi64ELi2ELi16ELi8ELi2ELi2EEEviiPKT_S4_PS2_ii
    .private_segment_fixed_size: 64
    .sgpr_count:     36
    .sgpr_spill_count: 0
    .symbol:         _ZN5aiter16wvSplitK_hf_sml_I6__halfLi64ELi2ELi16ELi8ELi2ELi2EEEviiPKT_S4_PS2_ii.kd
    .uniform_work_group_size: 1
    .uses_dynamic_stack: false
    .vgpr_count:     50
    .vgpr_spill_count: 0
    .wavefront_size: 32
    .workgroup_processor_mode: 1
  - .args:
      - .offset:         0
        .size:           4
        .value_kind:     by_value
      - .offset:         4
        .size:           4
        .value_kind:     by_value
      - .address_space:  global
        .offset:         8
        .size:           8
        .value_kind:     global_buffer
      - .actual_access:  read_only
        .address_space:  global
        .offset:         16
        .size:           8
        .value_kind:     global_buffer
      - .address_space:  global
        .offset:         24
        .size:           8
        .value_kind:     global_buffer
      - .offset:         32
        .size:           4
        .value_kind:     by_value
      - .offset:         36
        .size:           4
        .value_kind:     by_value
      - .offset:         40
        .size:           4
        .value_kind:     hidden_block_count_x
      - .offset:         44
        .size:           4
        .value_kind:     hidden_block_count_y
      - .offset:         48
        .size:           4
        .value_kind:     hidden_block_count_z
      - .offset:         52
        .size:           2
        .value_kind:     hidden_group_size_x
      - .offset:         54
        .size:           2
        .value_kind:     hidden_group_size_y
      - .offset:         56
        .size:           2
        .value_kind:     hidden_group_size_z
      - .offset:         58
        .size:           2
        .value_kind:     hidden_remainder_x
      - .offset:         60
        .size:           2
        .value_kind:     hidden_remainder_y
      - .offset:         62
        .size:           2
        .value_kind:     hidden_remainder_z
      - .offset:         80
        .size:           8
        .value_kind:     hidden_global_offset_x
      - .offset:         88
        .size:           8
        .value_kind:     hidden_global_offset_y
      - .offset:         96
        .size:           8
        .value_kind:     hidden_global_offset_z
      - .offset:         104
        .size:           2
        .value_kind:     hidden_grid_dims
      - .offset:         120
        .size:           8
        .value_kind:     hidden_hostcall_buffer
    .group_segment_fixed_size: 0
    .kernarg_segment_align: 8
    .kernarg_segment_size: 296
    .language:       OpenCL C
    .language_version:
      - 2
      - 0
    .max_flat_workgroup_size: 1024
    .name:           _ZN5aiter12wvSplitK_hf_I6__halfLi64ELi2ELi16ELi8ELi2ELi2EEEviiPKT_S4_PS2_ii
    .private_segment_fixed_size: 64
    .sgpr_count:     36
    .sgpr_spill_count: 0
    .symbol:         _ZN5aiter12wvSplitK_hf_I6__halfLi64ELi2ELi16ELi8ELi2ELi2EEEviiPKT_S4_PS2_ii.kd
    .uniform_work_group_size: 1
    .uses_dynamic_stack: false
    .vgpr_count:     50
    .vgpr_spill_count: 0
    .wavefront_size: 32
    .workgroup_processor_mode: 1
  - .args:
      - .offset:         0
        .size:           4
        .value_kind:     by_value
      - .offset:         4
        .size:           4
        .value_kind:     by_value
      - .address_space:  global
        .offset:         8
        .size:           8
        .value_kind:     global_buffer
      - .actual_access:  read_only
        .address_space:  global
        .offset:         16
        .size:           8
        .value_kind:     global_buffer
      - .address_space:  global
        .offset:         24
        .size:           8
        .value_kind:     global_buffer
      - .offset:         32
        .size:           4
        .value_kind:     by_value
      - .offset:         36
        .size:           4
        .value_kind:     by_value
      - .offset:         40
        .size:           4
        .value_kind:     hidden_block_count_x
      - .offset:         44
        .size:           4
        .value_kind:     hidden_block_count_y
      - .offset:         48
        .size:           4
        .value_kind:     hidden_block_count_z
      - .offset:         52
        .size:           2
        .value_kind:     hidden_group_size_x
      - .offset:         54
        .size:           2
        .value_kind:     hidden_group_size_y
      - .offset:         56
        .size:           2
        .value_kind:     hidden_group_size_z
      - .offset:         58
        .size:           2
        .value_kind:     hidden_remainder_x
      - .offset:         60
        .size:           2
        .value_kind:     hidden_remainder_y
      - .offset:         62
        .size:           2
        .value_kind:     hidden_remainder_z
      - .offset:         80
        .size:           8
        .value_kind:     hidden_global_offset_x
      - .offset:         88
        .size:           8
        .value_kind:     hidden_global_offset_y
      - .offset:         96
        .size:           8
        .value_kind:     hidden_global_offset_z
      - .offset:         104
        .size:           2
        .value_kind:     hidden_grid_dims
      - .offset:         120
        .size:           8
        .value_kind:     hidden_hostcall_buffer
    .group_segment_fixed_size: 0
    .kernarg_segment_align: 8
    .kernarg_segment_size: 296
    .language:       OpenCL C
    .language_version:
      - 2
      - 0
    .max_flat_workgroup_size: 1024
    .name:           _ZN5aiter16wvSplitK_hf_big_I6__halfLi64ELi2ELi16ELi8ELi2ELi2EEEviiPKT_S4_PS2_ii
    .private_segment_fixed_size: 64
    .sgpr_count:     36
    .sgpr_spill_count: 0
    .symbol:         _ZN5aiter16wvSplitK_hf_big_I6__halfLi64ELi2ELi16ELi8ELi2ELi2EEEviiPKT_S4_PS2_ii.kd
    .uniform_work_group_size: 1
    .uses_dynamic_stack: false
    .vgpr_count:     50
    .vgpr_spill_count: 0
    .wavefront_size: 32
    .workgroup_processor_mode: 1
  - .args:
      - .offset:         0
        .size:           4
        .value_kind:     by_value
      - .offset:         4
        .size:           4
        .value_kind:     by_value
      - .address_space:  global
        .offset:         8
        .size:           8
        .value_kind:     global_buffer
      - .actual_access:  read_only
        .address_space:  global
        .offset:         16
        .size:           8
        .value_kind:     global_buffer
      - .address_space:  global
        .offset:         24
        .size:           8
        .value_kind:     global_buffer
      - .offset:         32
        .size:           4
        .value_kind:     by_value
      - .offset:         36
        .size:           4
        .value_kind:     by_value
      - .offset:         40
        .size:           4
        .value_kind:     hidden_block_count_x
      - .offset:         44
        .size:           4
        .value_kind:     hidden_block_count_y
      - .offset:         48
        .size:           4
        .value_kind:     hidden_block_count_z
      - .offset:         52
        .size:           2
        .value_kind:     hidden_group_size_x
      - .offset:         54
        .size:           2
        .value_kind:     hidden_group_size_y
      - .offset:         56
        .size:           2
        .value_kind:     hidden_group_size_z
      - .offset:         58
        .size:           2
        .value_kind:     hidden_remainder_x
      - .offset:         60
        .size:           2
        .value_kind:     hidden_remainder_y
      - .offset:         62
        .size:           2
        .value_kind:     hidden_remainder_z
      - .offset:         80
        .size:           8
        .value_kind:     hidden_global_offset_x
      - .offset:         88
        .size:           8
        .value_kind:     hidden_global_offset_y
      - .offset:         96
        .size:           8
        .value_kind:     hidden_global_offset_z
      - .offset:         104
        .size:           2
        .value_kind:     hidden_grid_dims
      - .offset:         120
        .size:           8
        .value_kind:     hidden_hostcall_buffer
    .group_segment_fixed_size: 0
    .kernarg_segment_align: 8
    .kernarg_segment_size: 296
    .language:       OpenCL C
    .language_version:
      - 2
      - 0
    .max_flat_workgroup_size: 1024
    .name:           _ZN5aiter16wvSplitK_hf_sml_I6__halfLi64ELi4ELi16ELi8ELi1ELi3EEEviiPKT_S4_PS2_ii
    .private_segment_fixed_size: 64
    .sgpr_count:     36
    .sgpr_spill_count: 0
    .symbol:         _ZN5aiter16wvSplitK_hf_sml_I6__halfLi64ELi4ELi16ELi8ELi1ELi3EEEviiPKT_S4_PS2_ii.kd
    .uniform_work_group_size: 1
    .uses_dynamic_stack: false
    .vgpr_count:     50
    .vgpr_spill_count: 0
    .wavefront_size: 32
    .workgroup_processor_mode: 1
  - .args:
      - .offset:         0
        .size:           4
        .value_kind:     by_value
      - .offset:         4
        .size:           4
        .value_kind:     by_value
      - .address_space:  global
        .offset:         8
        .size:           8
        .value_kind:     global_buffer
      - .actual_access:  read_only
        .address_space:  global
        .offset:         16
        .size:           8
        .value_kind:     global_buffer
      - .address_space:  global
        .offset:         24
        .size:           8
        .value_kind:     global_buffer
      - .offset:         32
        .size:           4
        .value_kind:     by_value
      - .offset:         36
        .size:           4
        .value_kind:     by_value
      - .offset:         40
        .size:           4
        .value_kind:     hidden_block_count_x
      - .offset:         44
        .size:           4
        .value_kind:     hidden_block_count_y
      - .offset:         48
        .size:           4
        .value_kind:     hidden_block_count_z
      - .offset:         52
        .size:           2
        .value_kind:     hidden_group_size_x
      - .offset:         54
        .size:           2
        .value_kind:     hidden_group_size_y
      - .offset:         56
        .size:           2
        .value_kind:     hidden_group_size_z
      - .offset:         58
        .size:           2
        .value_kind:     hidden_remainder_x
      - .offset:         60
        .size:           2
        .value_kind:     hidden_remainder_y
      - .offset:         62
        .size:           2
        .value_kind:     hidden_remainder_z
      - .offset:         80
        .size:           8
        .value_kind:     hidden_global_offset_x
      - .offset:         88
        .size:           8
        .value_kind:     hidden_global_offset_y
      - .offset:         96
        .size:           8
        .value_kind:     hidden_global_offset_z
      - .offset:         104
        .size:           2
        .value_kind:     hidden_grid_dims
      - .offset:         120
        .size:           8
        .value_kind:     hidden_hostcall_buffer
    .group_segment_fixed_size: 0
    .kernarg_segment_align: 8
    .kernarg_segment_size: 296
    .language:       OpenCL C
    .language_version:
      - 2
      - 0
    .max_flat_workgroup_size: 1024
    .name:           _ZN5aiter12wvSplitK_hf_I6__halfLi64ELi7ELi16ELi8ELi1ELi3EEEviiPKT_S4_PS2_ii
    .private_segment_fixed_size: 64
    .sgpr_count:     36
    .sgpr_spill_count: 0
    .symbol:         _ZN5aiter12wvSplitK_hf_I6__halfLi64ELi7ELi16ELi8ELi1ELi3EEEviiPKT_S4_PS2_ii.kd
    .uniform_work_group_size: 1
    .uses_dynamic_stack: false
    .vgpr_count:     50
    .vgpr_spill_count: 0
    .wavefront_size: 32
    .workgroup_processor_mode: 1
  - .args:
      - .offset:         0
        .size:           4
        .value_kind:     by_value
      - .offset:         4
        .size:           4
        .value_kind:     by_value
      - .address_space:  global
        .offset:         8
        .size:           8
        .value_kind:     global_buffer
      - .actual_access:  read_only
        .address_space:  global
        .offset:         16
        .size:           8
        .value_kind:     global_buffer
      - .address_space:  global
        .offset:         24
        .size:           8
        .value_kind:     global_buffer
      - .offset:         32
        .size:           4
        .value_kind:     by_value
      - .offset:         36
        .size:           4
        .value_kind:     by_value
      - .offset:         40
        .size:           4
        .value_kind:     hidden_block_count_x
      - .offset:         44
        .size:           4
        .value_kind:     hidden_block_count_y
      - .offset:         48
        .size:           4
        .value_kind:     hidden_block_count_z
      - .offset:         52
        .size:           2
        .value_kind:     hidden_group_size_x
      - .offset:         54
        .size:           2
        .value_kind:     hidden_group_size_y
      - .offset:         56
        .size:           2
        .value_kind:     hidden_group_size_z
      - .offset:         58
        .size:           2
        .value_kind:     hidden_remainder_x
      - .offset:         60
        .size:           2
        .value_kind:     hidden_remainder_y
      - .offset:         62
        .size:           2
        .value_kind:     hidden_remainder_z
      - .offset:         80
        .size:           8
        .value_kind:     hidden_global_offset_x
      - .offset:         88
        .size:           8
        .value_kind:     hidden_global_offset_y
      - .offset:         96
        .size:           8
        .value_kind:     hidden_global_offset_z
      - .offset:         104
        .size:           2
        .value_kind:     hidden_grid_dims
      - .offset:         120
        .size:           8
        .value_kind:     hidden_hostcall_buffer
    .group_segment_fixed_size: 0
    .kernarg_segment_align: 8
    .kernarg_segment_size: 296
    .language:       OpenCL C
    .language_version:
      - 2
      - 0
    .max_flat_workgroup_size: 1024
    .name:           _ZN5aiter16wvSplitK_hf_big_I6__halfLi64ELi7ELi16ELi8ELi1ELi3EEEviiPKT_S4_PS2_ii
    .private_segment_fixed_size: 64
    .sgpr_count:     36
    .sgpr_spill_count: 0
    .symbol:         _ZN5aiter16wvSplitK_hf_big_I6__halfLi64ELi7ELi16ELi8ELi1ELi3EEEviiPKT_S4_PS2_ii.kd
    .uniform_work_group_size: 1
    .uses_dynamic_stack: false
    .vgpr_count:     50
    .vgpr_spill_count: 0
    .wavefront_size: 32
    .workgroup_processor_mode: 1
  - .args:
      - .offset:         0
        .size:           4
        .value_kind:     by_value
      - .offset:         4
        .size:           4
        .value_kind:     by_value
      - .address_space:  global
        .offset:         8
        .size:           8
        .value_kind:     global_buffer
      - .actual_access:  read_only
        .address_space:  global
        .offset:         16
        .size:           8
        .value_kind:     global_buffer
      - .address_space:  global
        .offset:         24
        .size:           8
        .value_kind:     global_buffer
      - .offset:         32
        .size:           4
        .value_kind:     by_value
      - .offset:         36
        .size:           4
        .value_kind:     by_value
      - .offset:         40
        .size:           4
        .value_kind:     hidden_block_count_x
      - .offset:         44
        .size:           4
        .value_kind:     hidden_block_count_y
      - .offset:         48
        .size:           4
        .value_kind:     hidden_block_count_z
      - .offset:         52
        .size:           2
        .value_kind:     hidden_group_size_x
      - .offset:         54
        .size:           2
        .value_kind:     hidden_group_size_y
      - .offset:         56
        .size:           2
        .value_kind:     hidden_group_size_z
      - .offset:         58
        .size:           2
        .value_kind:     hidden_remainder_x
      - .offset:         60
        .size:           2
        .value_kind:     hidden_remainder_y
      - .offset:         62
        .size:           2
        .value_kind:     hidden_remainder_z
      - .offset:         80
        .size:           8
        .value_kind:     hidden_global_offset_x
      - .offset:         88
        .size:           8
        .value_kind:     hidden_global_offset_y
      - .offset:         96
        .size:           8
        .value_kind:     hidden_global_offset_z
      - .offset:         104
        .size:           2
        .value_kind:     hidden_grid_dims
      - .offset:         120
        .size:           8
        .value_kind:     hidden_hostcall_buffer
    .group_segment_fixed_size: 0
    .kernarg_segment_align: 8
    .kernarg_segment_size: 296
    .language:       OpenCL C
    .language_version:
      - 2
      - 0
    .max_flat_workgroup_size: 1024
    .name:           _ZN5aiter16wvSplitK_hf_sml_I6__halfLi64ELi4ELi16ELi8ELi1ELi4EEEviiPKT_S4_PS2_ii
    .private_segment_fixed_size: 64
    .sgpr_count:     36
    .sgpr_spill_count: 0
    .symbol:         _ZN5aiter16wvSplitK_hf_sml_I6__halfLi64ELi4ELi16ELi8ELi1ELi4EEEviiPKT_S4_PS2_ii.kd
    .uniform_work_group_size: 1
    .uses_dynamic_stack: false
    .vgpr_count:     50
    .vgpr_spill_count: 0
    .wavefront_size: 32
    .workgroup_processor_mode: 1
  - .args:
      - .offset:         0
        .size:           4
        .value_kind:     by_value
      - .offset:         4
        .size:           4
        .value_kind:     by_value
      - .address_space:  global
        .offset:         8
        .size:           8
        .value_kind:     global_buffer
      - .actual_access:  read_only
        .address_space:  global
        .offset:         16
        .size:           8
        .value_kind:     global_buffer
      - .address_space:  global
        .offset:         24
        .size:           8
        .value_kind:     global_buffer
      - .offset:         32
        .size:           4
        .value_kind:     by_value
      - .offset:         36
        .size:           4
        .value_kind:     by_value
      - .offset:         40
        .size:           4
        .value_kind:     hidden_block_count_x
      - .offset:         44
        .size:           4
        .value_kind:     hidden_block_count_y
      - .offset:         48
        .size:           4
        .value_kind:     hidden_block_count_z
      - .offset:         52
        .size:           2
        .value_kind:     hidden_group_size_x
      - .offset:         54
        .size:           2
        .value_kind:     hidden_group_size_y
      - .offset:         56
        .size:           2
        .value_kind:     hidden_group_size_z
      - .offset:         58
        .size:           2
        .value_kind:     hidden_remainder_x
      - .offset:         60
        .size:           2
        .value_kind:     hidden_remainder_y
      - .offset:         62
        .size:           2
        .value_kind:     hidden_remainder_z
      - .offset:         80
        .size:           8
        .value_kind:     hidden_global_offset_x
      - .offset:         88
        .size:           8
        .value_kind:     hidden_global_offset_y
      - .offset:         96
        .size:           8
        .value_kind:     hidden_global_offset_z
      - .offset:         104
        .size:           2
        .value_kind:     hidden_grid_dims
      - .offset:         120
        .size:           8
        .value_kind:     hidden_hostcall_buffer
    .group_segment_fixed_size: 0
    .kernarg_segment_align: 8
    .kernarg_segment_size: 296
    .language:       OpenCL C
    .language_version:
      - 2
      - 0
    .max_flat_workgroup_size: 1024
    .name:           _ZN5aiter12wvSplitK_hf_I6__halfLi64ELi7ELi16ELi8ELi1ELi4EEEviiPKT_S4_PS2_ii
    .private_segment_fixed_size: 64
    .sgpr_count:     36
    .sgpr_spill_count: 0
    .symbol:         _ZN5aiter12wvSplitK_hf_I6__halfLi64ELi7ELi16ELi8ELi1ELi4EEEviiPKT_S4_PS2_ii.kd
    .uniform_work_group_size: 1
    .uses_dynamic_stack: false
    .vgpr_count:     50
    .vgpr_spill_count: 0
    .wavefront_size: 32
    .workgroup_processor_mode: 1
  - .args:
      - .offset:         0
        .size:           4
        .value_kind:     by_value
      - .offset:         4
        .size:           4
        .value_kind:     by_value
      - .address_space:  global
        .offset:         8
        .size:           8
        .value_kind:     global_buffer
      - .actual_access:  read_only
        .address_space:  global
        .offset:         16
        .size:           8
        .value_kind:     global_buffer
      - .address_space:  global
        .offset:         24
        .size:           8
        .value_kind:     global_buffer
      - .offset:         32
        .size:           4
        .value_kind:     by_value
      - .offset:         36
        .size:           4
        .value_kind:     by_value
      - .offset:         40
        .size:           4
        .value_kind:     hidden_block_count_x
      - .offset:         44
        .size:           4
        .value_kind:     hidden_block_count_y
      - .offset:         48
        .size:           4
        .value_kind:     hidden_block_count_z
      - .offset:         52
        .size:           2
        .value_kind:     hidden_group_size_x
      - .offset:         54
        .size:           2
        .value_kind:     hidden_group_size_y
      - .offset:         56
        .size:           2
        .value_kind:     hidden_group_size_z
      - .offset:         58
        .size:           2
        .value_kind:     hidden_remainder_x
      - .offset:         60
        .size:           2
        .value_kind:     hidden_remainder_y
      - .offset:         62
        .size:           2
        .value_kind:     hidden_remainder_z
      - .offset:         80
        .size:           8
        .value_kind:     hidden_global_offset_x
      - .offset:         88
        .size:           8
        .value_kind:     hidden_global_offset_y
      - .offset:         96
        .size:           8
        .value_kind:     hidden_global_offset_z
      - .offset:         104
        .size:           2
        .value_kind:     hidden_grid_dims
      - .offset:         120
        .size:           8
        .value_kind:     hidden_hostcall_buffer
    .group_segment_fixed_size: 0
    .kernarg_segment_align: 8
    .kernarg_segment_size: 296
    .language:       OpenCL C
    .language_version:
      - 2
      - 0
    .max_flat_workgroup_size: 1024
    .name:           _ZN5aiter16wvSplitK_hf_big_I6__halfLi64ELi7ELi16ELi8ELi1ELi4EEEviiPKT_S4_PS2_ii
    .private_segment_fixed_size: 64
    .sgpr_count:     36
    .sgpr_spill_count: 0
    .symbol:         _ZN5aiter16wvSplitK_hf_big_I6__halfLi64ELi7ELi16ELi8ELi1ELi4EEEviiPKT_S4_PS2_ii.kd
    .uniform_work_group_size: 1
    .uses_dynamic_stack: false
    .vgpr_count:     50
    .vgpr_spill_count: 0
    .wavefront_size: 32
    .workgroup_processor_mode: 1
  - .args:
      - .offset:         0
        .size:           4
        .value_kind:     by_value
      - .offset:         4
        .size:           4
        .value_kind:     by_value
      - .address_space:  global
        .offset:         8
        .size:           8
        .value_kind:     global_buffer
      - .actual_access:  read_only
        .address_space:  global
        .offset:         16
        .size:           8
        .value_kind:     global_buffer
      - .address_space:  global
        .offset:         24
        .size:           8
        .value_kind:     global_buffer
      - .offset:         32
        .size:           4
        .value_kind:     by_value
      - .offset:         36
        .size:           4
        .value_kind:     by_value
      - .offset:         40
        .size:           4
        .value_kind:     hidden_block_count_x
      - .offset:         44
        .size:           4
        .value_kind:     hidden_block_count_y
      - .offset:         48
        .size:           4
        .value_kind:     hidden_block_count_z
      - .offset:         52
        .size:           2
        .value_kind:     hidden_group_size_x
      - .offset:         54
        .size:           2
        .value_kind:     hidden_group_size_y
      - .offset:         56
        .size:           2
        .value_kind:     hidden_group_size_z
      - .offset:         58
        .size:           2
        .value_kind:     hidden_remainder_x
      - .offset:         60
        .size:           2
        .value_kind:     hidden_remainder_y
      - .offset:         62
        .size:           2
        .value_kind:     hidden_remainder_z
      - .offset:         80
        .size:           8
        .value_kind:     hidden_global_offset_x
      - .offset:         88
        .size:           8
        .value_kind:     hidden_global_offset_y
      - .offset:         96
        .size:           8
        .value_kind:     hidden_global_offset_z
      - .offset:         104
        .size:           2
        .value_kind:     hidden_grid_dims
      - .offset:         120
        .size:           8
        .value_kind:     hidden_hostcall_buffer
    .group_segment_fixed_size: 0
    .kernarg_segment_align: 8
    .kernarg_segment_size: 296
    .language:       OpenCL C
    .language_version:
      - 2
      - 0
    .max_flat_workgroup_size: 1024
    .name:           _ZN5aiter16wvSplitK_hf_sml_I14__hip_bfloat16Li64ELi2ELi16ELi8ELi2ELi1EEEviiPKT_S4_PS2_ii
    .private_segment_fixed_size: 64
    .sgpr_count:     36
    .sgpr_spill_count: 0
    .symbol:         _ZN5aiter16wvSplitK_hf_sml_I14__hip_bfloat16Li64ELi2ELi16ELi8ELi2ELi1EEEviiPKT_S4_PS2_ii.kd
    .uniform_work_group_size: 1
    .uses_dynamic_stack: false
    .vgpr_count:     50
    .vgpr_spill_count: 0
    .wavefront_size: 32
    .workgroup_processor_mode: 1
  - .args:
      - .offset:         0
        .size:           4
        .value_kind:     by_value
      - .offset:         4
        .size:           4
        .value_kind:     by_value
      - .address_space:  global
        .offset:         8
        .size:           8
        .value_kind:     global_buffer
      - .actual_access:  read_only
        .address_space:  global
        .offset:         16
        .size:           8
        .value_kind:     global_buffer
      - .address_space:  global
        .offset:         24
        .size:           8
        .value_kind:     global_buffer
      - .offset:         32
        .size:           4
        .value_kind:     by_value
      - .offset:         36
        .size:           4
        .value_kind:     by_value
      - .offset:         40
        .size:           4
        .value_kind:     hidden_block_count_x
      - .offset:         44
        .size:           4
        .value_kind:     hidden_block_count_y
      - .offset:         48
        .size:           4
        .value_kind:     hidden_block_count_z
      - .offset:         52
        .size:           2
        .value_kind:     hidden_group_size_x
      - .offset:         54
        .size:           2
        .value_kind:     hidden_group_size_y
      - .offset:         56
        .size:           2
        .value_kind:     hidden_group_size_z
      - .offset:         58
        .size:           2
        .value_kind:     hidden_remainder_x
      - .offset:         60
        .size:           2
        .value_kind:     hidden_remainder_y
      - .offset:         62
        .size:           2
        .value_kind:     hidden_remainder_z
      - .offset:         80
        .size:           8
        .value_kind:     hidden_global_offset_x
      - .offset:         88
        .size:           8
        .value_kind:     hidden_global_offset_y
      - .offset:         96
        .size:           8
        .value_kind:     hidden_global_offset_z
      - .offset:         104
        .size:           2
        .value_kind:     hidden_grid_dims
      - .offset:         120
        .size:           8
        .value_kind:     hidden_hostcall_buffer
    .group_segment_fixed_size: 0
    .kernarg_segment_align: 8
    .kernarg_segment_size: 296
    .language:       OpenCL C
    .language_version:
      - 2
      - 0
    .max_flat_workgroup_size: 1024
    .name:           _ZN5aiter12wvSplitK_hf_I14__hip_bfloat16Li64ELi2ELi16ELi8ELi2ELi1EEEviiPKT_S4_PS2_ii
    .private_segment_fixed_size: 64
    .sgpr_count:     36
    .sgpr_spill_count: 0
    .symbol:         _ZN5aiter12wvSplitK_hf_I14__hip_bfloat16Li64ELi2ELi16ELi8ELi2ELi1EEEviiPKT_S4_PS2_ii.kd
    .uniform_work_group_size: 1
    .uses_dynamic_stack: false
    .vgpr_count:     50
    .vgpr_spill_count: 0
    .wavefront_size: 32
    .workgroup_processor_mode: 1
  - .args:
      - .offset:         0
        .size:           4
        .value_kind:     by_value
      - .offset:         4
        .size:           4
        .value_kind:     by_value
      - .address_space:  global
        .offset:         8
        .size:           8
        .value_kind:     global_buffer
      - .actual_access:  read_only
        .address_space:  global
        .offset:         16
        .size:           8
        .value_kind:     global_buffer
      - .address_space:  global
        .offset:         24
        .size:           8
        .value_kind:     global_buffer
      - .offset:         32
        .size:           4
        .value_kind:     by_value
      - .offset:         36
        .size:           4
        .value_kind:     by_value
      - .offset:         40
        .size:           4
        .value_kind:     hidden_block_count_x
      - .offset:         44
        .size:           4
        .value_kind:     hidden_block_count_y
      - .offset:         48
        .size:           4
        .value_kind:     hidden_block_count_z
      - .offset:         52
        .size:           2
        .value_kind:     hidden_group_size_x
      - .offset:         54
        .size:           2
        .value_kind:     hidden_group_size_y
      - .offset:         56
        .size:           2
        .value_kind:     hidden_group_size_z
      - .offset:         58
        .size:           2
        .value_kind:     hidden_remainder_x
      - .offset:         60
        .size:           2
        .value_kind:     hidden_remainder_y
      - .offset:         62
        .size:           2
        .value_kind:     hidden_remainder_z
      - .offset:         80
        .size:           8
        .value_kind:     hidden_global_offset_x
      - .offset:         88
        .size:           8
        .value_kind:     hidden_global_offset_y
      - .offset:         96
        .size:           8
        .value_kind:     hidden_global_offset_z
      - .offset:         104
        .size:           2
        .value_kind:     hidden_grid_dims
      - .offset:         120
        .size:           8
        .value_kind:     hidden_hostcall_buffer
    .group_segment_fixed_size: 0
    .kernarg_segment_align: 8
    .kernarg_segment_size: 296
    .language:       OpenCL C
    .language_version:
      - 2
      - 0
    .max_flat_workgroup_size: 1024
    .name:           _ZN5aiter16wvSplitK_hf_big_I14__hip_bfloat16Li64ELi2ELi16ELi8ELi2ELi1EEEviiPKT_S4_PS2_ii
    .private_segment_fixed_size: 64
    .sgpr_count:     36
    .sgpr_spill_count: 0
    .symbol:         _ZN5aiter16wvSplitK_hf_big_I14__hip_bfloat16Li64ELi2ELi16ELi8ELi2ELi1EEEviiPKT_S4_PS2_ii.kd
    .uniform_work_group_size: 1
    .uses_dynamic_stack: false
    .vgpr_count:     50
    .vgpr_spill_count: 0
    .wavefront_size: 32
    .workgroup_processor_mode: 1
  - .args:
      - .offset:         0
        .size:           4
        .value_kind:     by_value
      - .offset:         4
        .size:           4
        .value_kind:     by_value
      - .address_space:  global
        .offset:         8
        .size:           8
        .value_kind:     global_buffer
      - .actual_access:  read_only
        .address_space:  global
        .offset:         16
        .size:           8
        .value_kind:     global_buffer
      - .address_space:  global
        .offset:         24
        .size:           8
        .value_kind:     global_buffer
      - .offset:         32
        .size:           4
        .value_kind:     by_value
      - .offset:         36
        .size:           4
        .value_kind:     by_value
      - .offset:         40
        .size:           4
        .value_kind:     hidden_block_count_x
      - .offset:         44
        .size:           4
        .value_kind:     hidden_block_count_y
      - .offset:         48
        .size:           4
        .value_kind:     hidden_block_count_z
      - .offset:         52
        .size:           2
        .value_kind:     hidden_group_size_x
      - .offset:         54
        .size:           2
        .value_kind:     hidden_group_size_y
      - .offset:         56
        .size:           2
        .value_kind:     hidden_group_size_z
      - .offset:         58
        .size:           2
        .value_kind:     hidden_remainder_x
      - .offset:         60
        .size:           2
        .value_kind:     hidden_remainder_y
      - .offset:         62
        .size:           2
        .value_kind:     hidden_remainder_z
      - .offset:         80
        .size:           8
        .value_kind:     hidden_global_offset_x
      - .offset:         88
        .size:           8
        .value_kind:     hidden_global_offset_y
      - .offset:         96
        .size:           8
        .value_kind:     hidden_global_offset_z
      - .offset:         104
        .size:           2
        .value_kind:     hidden_grid_dims
      - .offset:         120
        .size:           8
        .value_kind:     hidden_hostcall_buffer
    .group_segment_fixed_size: 0
    .kernarg_segment_align: 8
    .kernarg_segment_size: 296
    .language:       OpenCL C
    .language_version:
      - 2
      - 0
    .max_flat_workgroup_size: 1024
    .name:           _ZN5aiter16wvSplitK_hf_sml_I14__hip_bfloat16Li64ELi2ELi16ELi8ELi2ELi2EEEviiPKT_S4_PS2_ii
    .private_segment_fixed_size: 64
    .sgpr_count:     36
    .sgpr_spill_count: 0
    .symbol:         _ZN5aiter16wvSplitK_hf_sml_I14__hip_bfloat16Li64ELi2ELi16ELi8ELi2ELi2EEEviiPKT_S4_PS2_ii.kd
    .uniform_work_group_size: 1
    .uses_dynamic_stack: false
    .vgpr_count:     50
    .vgpr_spill_count: 0
    .wavefront_size: 32
    .workgroup_processor_mode: 1
  - .args:
      - .offset:         0
        .size:           4
        .value_kind:     by_value
      - .offset:         4
        .size:           4
        .value_kind:     by_value
      - .address_space:  global
        .offset:         8
        .size:           8
        .value_kind:     global_buffer
      - .actual_access:  read_only
        .address_space:  global
        .offset:         16
        .size:           8
        .value_kind:     global_buffer
      - .address_space:  global
        .offset:         24
        .size:           8
        .value_kind:     global_buffer
      - .offset:         32
        .size:           4
        .value_kind:     by_value
      - .offset:         36
        .size:           4
        .value_kind:     by_value
      - .offset:         40
        .size:           4
        .value_kind:     hidden_block_count_x
      - .offset:         44
        .size:           4
        .value_kind:     hidden_block_count_y
      - .offset:         48
        .size:           4
        .value_kind:     hidden_block_count_z
      - .offset:         52
        .size:           2
        .value_kind:     hidden_group_size_x
      - .offset:         54
        .size:           2
        .value_kind:     hidden_group_size_y
      - .offset:         56
        .size:           2
        .value_kind:     hidden_group_size_z
      - .offset:         58
        .size:           2
        .value_kind:     hidden_remainder_x
      - .offset:         60
        .size:           2
        .value_kind:     hidden_remainder_y
      - .offset:         62
        .size:           2
        .value_kind:     hidden_remainder_z
      - .offset:         80
        .size:           8
        .value_kind:     hidden_global_offset_x
      - .offset:         88
        .size:           8
        .value_kind:     hidden_global_offset_y
      - .offset:         96
        .size:           8
        .value_kind:     hidden_global_offset_z
      - .offset:         104
        .size:           2
        .value_kind:     hidden_grid_dims
      - .offset:         120
        .size:           8
        .value_kind:     hidden_hostcall_buffer
    .group_segment_fixed_size: 0
    .kernarg_segment_align: 8
    .kernarg_segment_size: 296
    .language:       OpenCL C
    .language_version:
      - 2
      - 0
    .max_flat_workgroup_size: 1024
    .name:           _ZN5aiter12wvSplitK_hf_I14__hip_bfloat16Li64ELi2ELi16ELi8ELi2ELi2EEEviiPKT_S4_PS2_ii
    .private_segment_fixed_size: 64
    .sgpr_count:     36
    .sgpr_spill_count: 0
    .symbol:         _ZN5aiter12wvSplitK_hf_I14__hip_bfloat16Li64ELi2ELi16ELi8ELi2ELi2EEEviiPKT_S4_PS2_ii.kd
    .uniform_work_group_size: 1
    .uses_dynamic_stack: false
    .vgpr_count:     50
    .vgpr_spill_count: 0
    .wavefront_size: 32
    .workgroup_processor_mode: 1
  - .args:
      - .offset:         0
        .size:           4
        .value_kind:     by_value
      - .offset:         4
        .size:           4
        .value_kind:     by_value
      - .address_space:  global
        .offset:         8
        .size:           8
        .value_kind:     global_buffer
      - .actual_access:  read_only
        .address_space:  global
        .offset:         16
        .size:           8
        .value_kind:     global_buffer
      - .address_space:  global
        .offset:         24
        .size:           8
        .value_kind:     global_buffer
      - .offset:         32
        .size:           4
        .value_kind:     by_value
      - .offset:         36
        .size:           4
        .value_kind:     by_value
      - .offset:         40
        .size:           4
        .value_kind:     hidden_block_count_x
      - .offset:         44
        .size:           4
        .value_kind:     hidden_block_count_y
      - .offset:         48
        .size:           4
        .value_kind:     hidden_block_count_z
      - .offset:         52
        .size:           2
        .value_kind:     hidden_group_size_x
      - .offset:         54
        .size:           2
        .value_kind:     hidden_group_size_y
      - .offset:         56
        .size:           2
        .value_kind:     hidden_group_size_z
      - .offset:         58
        .size:           2
        .value_kind:     hidden_remainder_x
      - .offset:         60
        .size:           2
        .value_kind:     hidden_remainder_y
      - .offset:         62
        .size:           2
        .value_kind:     hidden_remainder_z
      - .offset:         80
        .size:           8
        .value_kind:     hidden_global_offset_x
      - .offset:         88
        .size:           8
        .value_kind:     hidden_global_offset_y
      - .offset:         96
        .size:           8
        .value_kind:     hidden_global_offset_z
      - .offset:         104
        .size:           2
        .value_kind:     hidden_grid_dims
      - .offset:         120
        .size:           8
        .value_kind:     hidden_hostcall_buffer
    .group_segment_fixed_size: 0
    .kernarg_segment_align: 8
    .kernarg_segment_size: 296
    .language:       OpenCL C
    .language_version:
      - 2
      - 0
    .max_flat_workgroup_size: 1024
    .name:           _ZN5aiter16wvSplitK_hf_big_I14__hip_bfloat16Li64ELi2ELi16ELi8ELi2ELi2EEEviiPKT_S4_PS2_ii
    .private_segment_fixed_size: 64
    .sgpr_count:     36
    .sgpr_spill_count: 0
    .symbol:         _ZN5aiter16wvSplitK_hf_big_I14__hip_bfloat16Li64ELi2ELi16ELi8ELi2ELi2EEEviiPKT_S4_PS2_ii.kd
    .uniform_work_group_size: 1
    .uses_dynamic_stack: false
    .vgpr_count:     50
    .vgpr_spill_count: 0
    .wavefront_size: 32
    .workgroup_processor_mode: 1
  - .args:
      - .offset:         0
        .size:           4
        .value_kind:     by_value
      - .offset:         4
        .size:           4
        .value_kind:     by_value
      - .address_space:  global
        .offset:         8
        .size:           8
        .value_kind:     global_buffer
      - .actual_access:  read_only
        .address_space:  global
        .offset:         16
        .size:           8
        .value_kind:     global_buffer
      - .address_space:  global
        .offset:         24
        .size:           8
        .value_kind:     global_buffer
      - .offset:         32
        .size:           4
        .value_kind:     by_value
      - .offset:         36
        .size:           4
        .value_kind:     by_value
      - .offset:         40
        .size:           4
        .value_kind:     hidden_block_count_x
      - .offset:         44
        .size:           4
        .value_kind:     hidden_block_count_y
      - .offset:         48
        .size:           4
        .value_kind:     hidden_block_count_z
      - .offset:         52
        .size:           2
        .value_kind:     hidden_group_size_x
      - .offset:         54
        .size:           2
        .value_kind:     hidden_group_size_y
      - .offset:         56
        .size:           2
        .value_kind:     hidden_group_size_z
      - .offset:         58
        .size:           2
        .value_kind:     hidden_remainder_x
      - .offset:         60
        .size:           2
        .value_kind:     hidden_remainder_y
      - .offset:         62
        .size:           2
        .value_kind:     hidden_remainder_z
      - .offset:         80
        .size:           8
        .value_kind:     hidden_global_offset_x
      - .offset:         88
        .size:           8
        .value_kind:     hidden_global_offset_y
      - .offset:         96
        .size:           8
        .value_kind:     hidden_global_offset_z
      - .offset:         104
        .size:           2
        .value_kind:     hidden_grid_dims
      - .offset:         120
        .size:           8
        .value_kind:     hidden_hostcall_buffer
    .group_segment_fixed_size: 0
    .kernarg_segment_align: 8
    .kernarg_segment_size: 296
    .language:       OpenCL C
    .language_version:
      - 2
      - 0
    .max_flat_workgroup_size: 1024
    .name:           _ZN5aiter16wvSplitK_hf_sml_I14__hip_bfloat16Li64ELi4ELi16ELi8ELi1ELi3EEEviiPKT_S4_PS2_ii
    .private_segment_fixed_size: 64
    .sgpr_count:     36
    .sgpr_spill_count: 0
    .symbol:         _ZN5aiter16wvSplitK_hf_sml_I14__hip_bfloat16Li64ELi4ELi16ELi8ELi1ELi3EEEviiPKT_S4_PS2_ii.kd
    .uniform_work_group_size: 1
    .uses_dynamic_stack: false
    .vgpr_count:     50
    .vgpr_spill_count: 0
    .wavefront_size: 32
    .workgroup_processor_mode: 1
  - .args:
      - .offset:         0
        .size:           4
        .value_kind:     by_value
      - .offset:         4
        .size:           4
        .value_kind:     by_value
      - .address_space:  global
        .offset:         8
        .size:           8
        .value_kind:     global_buffer
      - .actual_access:  read_only
        .address_space:  global
        .offset:         16
        .size:           8
        .value_kind:     global_buffer
      - .address_space:  global
        .offset:         24
        .size:           8
        .value_kind:     global_buffer
      - .offset:         32
        .size:           4
        .value_kind:     by_value
      - .offset:         36
        .size:           4
        .value_kind:     by_value
      - .offset:         40
        .size:           4
        .value_kind:     hidden_block_count_x
      - .offset:         44
        .size:           4
        .value_kind:     hidden_block_count_y
      - .offset:         48
        .size:           4
        .value_kind:     hidden_block_count_z
      - .offset:         52
        .size:           2
        .value_kind:     hidden_group_size_x
      - .offset:         54
        .size:           2
        .value_kind:     hidden_group_size_y
      - .offset:         56
        .size:           2
        .value_kind:     hidden_group_size_z
      - .offset:         58
        .size:           2
        .value_kind:     hidden_remainder_x
      - .offset:         60
        .size:           2
        .value_kind:     hidden_remainder_y
      - .offset:         62
        .size:           2
        .value_kind:     hidden_remainder_z
      - .offset:         80
        .size:           8
        .value_kind:     hidden_global_offset_x
      - .offset:         88
        .size:           8
        .value_kind:     hidden_global_offset_y
      - .offset:         96
        .size:           8
        .value_kind:     hidden_global_offset_z
      - .offset:         104
        .size:           2
        .value_kind:     hidden_grid_dims
      - .offset:         120
        .size:           8
        .value_kind:     hidden_hostcall_buffer
    .group_segment_fixed_size: 0
    .kernarg_segment_align: 8
    .kernarg_segment_size: 296
    .language:       OpenCL C
    .language_version:
      - 2
      - 0
    .max_flat_workgroup_size: 1024
    .name:           _ZN5aiter12wvSplitK_hf_I14__hip_bfloat16Li64ELi7ELi16ELi8ELi1ELi3EEEviiPKT_S4_PS2_ii
    .private_segment_fixed_size: 64
    .sgpr_count:     36
    .sgpr_spill_count: 0
    .symbol:         _ZN5aiter12wvSplitK_hf_I14__hip_bfloat16Li64ELi7ELi16ELi8ELi1ELi3EEEviiPKT_S4_PS2_ii.kd
    .uniform_work_group_size: 1
    .uses_dynamic_stack: false
    .vgpr_count:     50
    .vgpr_spill_count: 0
    .wavefront_size: 32
    .workgroup_processor_mode: 1
  - .args:
      - .offset:         0
        .size:           4
        .value_kind:     by_value
      - .offset:         4
        .size:           4
        .value_kind:     by_value
      - .address_space:  global
        .offset:         8
        .size:           8
        .value_kind:     global_buffer
      - .actual_access:  read_only
        .address_space:  global
        .offset:         16
        .size:           8
        .value_kind:     global_buffer
      - .address_space:  global
        .offset:         24
        .size:           8
        .value_kind:     global_buffer
      - .offset:         32
        .size:           4
        .value_kind:     by_value
      - .offset:         36
        .size:           4
        .value_kind:     by_value
      - .offset:         40
        .size:           4
        .value_kind:     hidden_block_count_x
      - .offset:         44
        .size:           4
        .value_kind:     hidden_block_count_y
      - .offset:         48
        .size:           4
        .value_kind:     hidden_block_count_z
      - .offset:         52
        .size:           2
        .value_kind:     hidden_group_size_x
      - .offset:         54
        .size:           2
        .value_kind:     hidden_group_size_y
      - .offset:         56
        .size:           2
        .value_kind:     hidden_group_size_z
      - .offset:         58
        .size:           2
        .value_kind:     hidden_remainder_x
      - .offset:         60
        .size:           2
        .value_kind:     hidden_remainder_y
      - .offset:         62
        .size:           2
        .value_kind:     hidden_remainder_z
      - .offset:         80
        .size:           8
        .value_kind:     hidden_global_offset_x
      - .offset:         88
        .size:           8
        .value_kind:     hidden_global_offset_y
      - .offset:         96
        .size:           8
        .value_kind:     hidden_global_offset_z
      - .offset:         104
        .size:           2
        .value_kind:     hidden_grid_dims
      - .offset:         120
        .size:           8
        .value_kind:     hidden_hostcall_buffer
    .group_segment_fixed_size: 0
    .kernarg_segment_align: 8
    .kernarg_segment_size: 296
    .language:       OpenCL C
    .language_version:
      - 2
      - 0
    .max_flat_workgroup_size: 1024
    .name:           _ZN5aiter16wvSplitK_hf_big_I14__hip_bfloat16Li64ELi7ELi16ELi8ELi1ELi3EEEviiPKT_S4_PS2_ii
    .private_segment_fixed_size: 64
    .sgpr_count:     36
    .sgpr_spill_count: 0
    .symbol:         _ZN5aiter16wvSplitK_hf_big_I14__hip_bfloat16Li64ELi7ELi16ELi8ELi1ELi3EEEviiPKT_S4_PS2_ii.kd
    .uniform_work_group_size: 1
    .uses_dynamic_stack: false
    .vgpr_count:     50
    .vgpr_spill_count: 0
    .wavefront_size: 32
    .workgroup_processor_mode: 1
  - .args:
      - .offset:         0
        .size:           4
        .value_kind:     by_value
      - .offset:         4
        .size:           4
        .value_kind:     by_value
      - .address_space:  global
        .offset:         8
        .size:           8
        .value_kind:     global_buffer
      - .actual_access:  read_only
        .address_space:  global
        .offset:         16
        .size:           8
        .value_kind:     global_buffer
      - .address_space:  global
        .offset:         24
        .size:           8
        .value_kind:     global_buffer
      - .offset:         32
        .size:           4
        .value_kind:     by_value
      - .offset:         36
        .size:           4
        .value_kind:     by_value
      - .offset:         40
        .size:           4
        .value_kind:     hidden_block_count_x
      - .offset:         44
        .size:           4
        .value_kind:     hidden_block_count_y
      - .offset:         48
        .size:           4
        .value_kind:     hidden_block_count_z
      - .offset:         52
        .size:           2
        .value_kind:     hidden_group_size_x
      - .offset:         54
        .size:           2
        .value_kind:     hidden_group_size_y
      - .offset:         56
        .size:           2
        .value_kind:     hidden_group_size_z
      - .offset:         58
        .size:           2
        .value_kind:     hidden_remainder_x
      - .offset:         60
        .size:           2
        .value_kind:     hidden_remainder_y
      - .offset:         62
        .size:           2
        .value_kind:     hidden_remainder_z
      - .offset:         80
        .size:           8
        .value_kind:     hidden_global_offset_x
      - .offset:         88
        .size:           8
        .value_kind:     hidden_global_offset_y
      - .offset:         96
        .size:           8
        .value_kind:     hidden_global_offset_z
      - .offset:         104
        .size:           2
        .value_kind:     hidden_grid_dims
      - .offset:         120
        .size:           8
        .value_kind:     hidden_hostcall_buffer
    .group_segment_fixed_size: 0
    .kernarg_segment_align: 8
    .kernarg_segment_size: 296
    .language:       OpenCL C
    .language_version:
      - 2
      - 0
    .max_flat_workgroup_size: 1024
    .name:           _ZN5aiter16wvSplitK_hf_sml_I14__hip_bfloat16Li64ELi4ELi16ELi8ELi1ELi4EEEviiPKT_S4_PS2_ii
    .private_segment_fixed_size: 64
    .sgpr_count:     36
    .sgpr_spill_count: 0
    .symbol:         _ZN5aiter16wvSplitK_hf_sml_I14__hip_bfloat16Li64ELi4ELi16ELi8ELi1ELi4EEEviiPKT_S4_PS2_ii.kd
    .uniform_work_group_size: 1
    .uses_dynamic_stack: false
    .vgpr_count:     50
    .vgpr_spill_count: 0
    .wavefront_size: 32
    .workgroup_processor_mode: 1
  - .args:
      - .offset:         0
        .size:           4
        .value_kind:     by_value
      - .offset:         4
        .size:           4
        .value_kind:     by_value
      - .address_space:  global
        .offset:         8
        .size:           8
        .value_kind:     global_buffer
      - .actual_access:  read_only
        .address_space:  global
        .offset:         16
        .size:           8
        .value_kind:     global_buffer
      - .address_space:  global
        .offset:         24
        .size:           8
        .value_kind:     global_buffer
      - .offset:         32
        .size:           4
        .value_kind:     by_value
      - .offset:         36
        .size:           4
        .value_kind:     by_value
      - .offset:         40
        .size:           4
        .value_kind:     hidden_block_count_x
      - .offset:         44
        .size:           4
        .value_kind:     hidden_block_count_y
      - .offset:         48
        .size:           4
        .value_kind:     hidden_block_count_z
      - .offset:         52
        .size:           2
        .value_kind:     hidden_group_size_x
      - .offset:         54
        .size:           2
        .value_kind:     hidden_group_size_y
      - .offset:         56
        .size:           2
        .value_kind:     hidden_group_size_z
      - .offset:         58
        .size:           2
        .value_kind:     hidden_remainder_x
      - .offset:         60
        .size:           2
        .value_kind:     hidden_remainder_y
      - .offset:         62
        .size:           2
        .value_kind:     hidden_remainder_z
      - .offset:         80
        .size:           8
        .value_kind:     hidden_global_offset_x
      - .offset:         88
        .size:           8
        .value_kind:     hidden_global_offset_y
      - .offset:         96
        .size:           8
        .value_kind:     hidden_global_offset_z
      - .offset:         104
        .size:           2
        .value_kind:     hidden_grid_dims
      - .offset:         120
        .size:           8
        .value_kind:     hidden_hostcall_buffer
    .group_segment_fixed_size: 0
    .kernarg_segment_align: 8
    .kernarg_segment_size: 296
    .language:       OpenCL C
    .language_version:
      - 2
      - 0
    .max_flat_workgroup_size: 1024
    .name:           _ZN5aiter12wvSplitK_hf_I14__hip_bfloat16Li64ELi7ELi16ELi8ELi1ELi4EEEviiPKT_S4_PS2_ii
    .private_segment_fixed_size: 64
    .sgpr_count:     36
    .sgpr_spill_count: 0
    .symbol:         _ZN5aiter12wvSplitK_hf_I14__hip_bfloat16Li64ELi7ELi16ELi8ELi1ELi4EEEviiPKT_S4_PS2_ii.kd
    .uniform_work_group_size: 1
    .uses_dynamic_stack: false
    .vgpr_count:     50
    .vgpr_spill_count: 0
    .wavefront_size: 32
    .workgroup_processor_mode: 1
  - .args:
      - .offset:         0
        .size:           4
        .value_kind:     by_value
      - .offset:         4
        .size:           4
        .value_kind:     by_value
      - .address_space:  global
        .offset:         8
        .size:           8
        .value_kind:     global_buffer
      - .actual_access:  read_only
        .address_space:  global
        .offset:         16
        .size:           8
        .value_kind:     global_buffer
      - .address_space:  global
        .offset:         24
        .size:           8
        .value_kind:     global_buffer
      - .offset:         32
        .size:           4
        .value_kind:     by_value
      - .offset:         36
        .size:           4
        .value_kind:     by_value
      - .offset:         40
        .size:           4
        .value_kind:     hidden_block_count_x
      - .offset:         44
        .size:           4
        .value_kind:     hidden_block_count_y
      - .offset:         48
        .size:           4
        .value_kind:     hidden_block_count_z
      - .offset:         52
        .size:           2
        .value_kind:     hidden_group_size_x
      - .offset:         54
        .size:           2
        .value_kind:     hidden_group_size_y
      - .offset:         56
        .size:           2
        .value_kind:     hidden_group_size_z
      - .offset:         58
        .size:           2
        .value_kind:     hidden_remainder_x
      - .offset:         60
        .size:           2
        .value_kind:     hidden_remainder_y
      - .offset:         62
        .size:           2
        .value_kind:     hidden_remainder_z
      - .offset:         80
        .size:           8
        .value_kind:     hidden_global_offset_x
      - .offset:         88
        .size:           8
        .value_kind:     hidden_global_offset_y
      - .offset:         96
        .size:           8
        .value_kind:     hidden_global_offset_z
      - .offset:         104
        .size:           2
        .value_kind:     hidden_grid_dims
      - .offset:         120
        .size:           8
        .value_kind:     hidden_hostcall_buffer
    .group_segment_fixed_size: 0
    .kernarg_segment_align: 8
    .kernarg_segment_size: 296
    .language:       OpenCL C
    .language_version:
      - 2
      - 0
    .max_flat_workgroup_size: 1024
    .name:           _ZN5aiter16wvSplitK_hf_big_I14__hip_bfloat16Li64ELi7ELi16ELi8ELi1ELi4EEEviiPKT_S4_PS2_ii
    .private_segment_fixed_size: 64
    .sgpr_count:     36
    .sgpr_spill_count: 0
    .symbol:         _ZN5aiter16wvSplitK_hf_big_I14__hip_bfloat16Li64ELi7ELi16ELi8ELi1ELi4EEEviiPKT_S4_PS2_ii.kd
    .uniform_work_group_size: 1
    .uses_dynamic_stack: false
    .vgpr_count:     50
    .vgpr_spill_count: 0
    .wavefront_size: 32
    .workgroup_processor_mode: 1
  - .args:
      - .offset:         0
        .size:           4
        .value_kind:     by_value
      - .offset:         4
        .size:           4
        .value_kind:     by_value
      - .offset:         8
        .size:           4
        .value_kind:     by_value
      - .address_space:  global
        .offset:         16
        .size:           8
        .value_kind:     global_buffer
      - .actual_access:  read_only
        .address_space:  global
        .offset:         24
        .size:           8
        .value_kind:     global_buffer
      - .address_space:  global
        .offset:         32
        .size:           8
        .value_kind:     global_buffer
      - .actual_access:  read_only
        .address_space:  global
        .offset:         40
        .size:           8
        .value_kind:     global_buffer
      - .actual_access:  read_only
        .address_space:  global
        .offset:         48
        .size:           8
        .value_kind:     global_buffer
      - .offset:         56
        .size:           4
        .value_kind:     by_value
      - .offset:         60
        .size:           4
        .value_kind:     by_value
      - .offset:         64
        .size:           4
        .value_kind:     hidden_block_count_x
      - .offset:         68
        .size:           4
        .value_kind:     hidden_block_count_y
      - .offset:         72
        .size:           4
        .value_kind:     hidden_block_count_z
      - .offset:         76
        .size:           2
        .value_kind:     hidden_group_size_x
      - .offset:         78
        .size:           2
        .value_kind:     hidden_group_size_y
      - .offset:         80
        .size:           2
        .value_kind:     hidden_group_size_z
      - .offset:         82
        .size:           2
        .value_kind:     hidden_remainder_x
      - .offset:         84
        .size:           2
        .value_kind:     hidden_remainder_y
      - .offset:         86
        .size:           2
        .value_kind:     hidden_remainder_z
      - .offset:         104
        .size:           8
        .value_kind:     hidden_global_offset_x
      - .offset:         112
        .size:           8
        .value_kind:     hidden_global_offset_y
      - .offset:         120
        .size:           8
        .value_kind:     hidden_global_offset_z
      - .offset:         128
        .size:           2
        .value_kind:     hidden_grid_dims
      - .offset:         144
        .size:           8
        .value_kind:     hidden_hostcall_buffer
    .group_segment_fixed_size: 0
    .kernarg_segment_align: 8
    .kernarg_segment_size: 320
    .language:       OpenCL C
    .language_version:
      - 2
      - 0
    .max_flat_workgroup_size: 1024
    .name:           _ZN5aiter17wvSplitKQ_hf_sml_I6__halfhLi64ELi2ELi16ELi16ELi2ELi1EEEviiiPKT0_S4_PT_PKfS8_ii
    .private_segment_fixed_size: 64
    .sgpr_count:     36
    .sgpr_spill_count: 0
    .symbol:         _ZN5aiter17wvSplitKQ_hf_sml_I6__halfhLi64ELi2ELi16ELi16ELi2ELi1EEEviiiPKT0_S4_PT_PKfS8_ii.kd
    .uniform_work_group_size: 1
    .uses_dynamic_stack: false
    .vgpr_count:     50
    .vgpr_spill_count: 0
    .wavefront_size: 32
    .workgroup_processor_mode: 1
  - .args:
      - .offset:         0
        .size:           4
        .value_kind:     by_value
      - .offset:         4
        .size:           4
        .value_kind:     by_value
      - .offset:         8
        .size:           4
        .value_kind:     by_value
      - .address_space:  global
        .offset:         16
        .size:           8
        .value_kind:     global_buffer
      - .actual_access:  read_only
        .address_space:  global
        .offset:         24
        .size:           8
        .value_kind:     global_buffer
      - .address_space:  global
        .offset:         32
        .size:           8
        .value_kind:     global_buffer
      - .actual_access:  read_only
        .address_space:  global
        .offset:         40
        .size:           8
        .value_kind:     global_buffer
      - .actual_access:  read_only
        .address_space:  global
        .offset:         48
        .size:           8
        .value_kind:     global_buffer
      - .offset:         56
        .size:           4
        .value_kind:     by_value
      - .offset:         60
        .size:           4
        .value_kind:     by_value
      - .offset:         64
        .size:           4
        .value_kind:     hidden_block_count_x
      - .offset:         68
        .size:           4
        .value_kind:     hidden_block_count_y
      - .offset:         72
        .size:           4
        .value_kind:     hidden_block_count_z
      - .offset:         76
        .size:           2
        .value_kind:     hidden_group_size_x
      - .offset:         78
        .size:           2
        .value_kind:     hidden_group_size_y
      - .offset:         80
        .size:           2
        .value_kind:     hidden_group_size_z
      - .offset:         82
        .size:           2
        .value_kind:     hidden_remainder_x
      - .offset:         84
        .size:           2
        .value_kind:     hidden_remainder_y
      - .offset:         86
        .size:           2
        .value_kind:     hidden_remainder_z
      - .offset:         104
        .size:           8
        .value_kind:     hidden_global_offset_x
      - .offset:         112
        .size:           8
        .value_kind:     hidden_global_offset_y
      - .offset:         120
        .size:           8
        .value_kind:     hidden_global_offset_z
      - .offset:         128
        .size:           2
        .value_kind:     hidden_grid_dims
      - .offset:         144
        .size:           8
        .value_kind:     hidden_hostcall_buffer
    .group_segment_fixed_size: 0
    .kernarg_segment_align: 8
    .kernarg_segment_size: 320
    .language:       OpenCL C
    .language_version:
      - 2
      - 0
    .max_flat_workgroup_size: 1024
    .name:           _ZN5aiter13wvSplitKQ_hf_I6__halfhLi64ELi2ELi16ELi16ELi2ELi1EEEviiiPKT0_S4_PT_PKfS8_ii
    .private_segment_fixed_size: 64
    .sgpr_count:     36
    .sgpr_spill_count: 0
    .symbol:         _ZN5aiter13wvSplitKQ_hf_I6__halfhLi64ELi2ELi16ELi16ELi2ELi1EEEviiiPKT0_S4_PT_PKfS8_ii.kd
    .uniform_work_group_size: 1
    .uses_dynamic_stack: false
    .vgpr_count:     50
    .vgpr_spill_count: 0
    .wavefront_size: 32
    .workgroup_processor_mode: 1
  - .args:
      - .offset:         0
        .size:           4
        .value_kind:     by_value
      - .offset:         4
        .size:           4
        .value_kind:     by_value
      - .offset:         8
        .size:           4
        .value_kind:     by_value
      - .address_space:  global
        .offset:         16
        .size:           8
        .value_kind:     global_buffer
      - .actual_access:  read_only
        .address_space:  global
        .offset:         24
        .size:           8
        .value_kind:     global_buffer
      - .address_space:  global
        .offset:         32
        .size:           8
        .value_kind:     global_buffer
      - .actual_access:  read_only
        .address_space:  global
        .offset:         40
        .size:           8
        .value_kind:     global_buffer
      - .actual_access:  read_only
        .address_space:  global
        .offset:         48
        .size:           8
        .value_kind:     global_buffer
      - .offset:         56
        .size:           4
        .value_kind:     by_value
      - .offset:         60
        .size:           4
        .value_kind:     by_value
      - .offset:         64
        .size:           4
        .value_kind:     hidden_block_count_x
      - .offset:         68
        .size:           4
        .value_kind:     hidden_block_count_y
      - .offset:         72
        .size:           4
        .value_kind:     hidden_block_count_z
      - .offset:         76
        .size:           2
        .value_kind:     hidden_group_size_x
      - .offset:         78
        .size:           2
        .value_kind:     hidden_group_size_y
      - .offset:         80
        .size:           2
        .value_kind:     hidden_group_size_z
      - .offset:         82
        .size:           2
        .value_kind:     hidden_remainder_x
      - .offset:         84
        .size:           2
        .value_kind:     hidden_remainder_y
      - .offset:         86
        .size:           2
        .value_kind:     hidden_remainder_z
      - .offset:         104
        .size:           8
        .value_kind:     hidden_global_offset_x
      - .offset:         112
        .size:           8
        .value_kind:     hidden_global_offset_y
      - .offset:         120
        .size:           8
        .value_kind:     hidden_global_offset_z
      - .offset:         128
        .size:           2
        .value_kind:     hidden_grid_dims
      - .offset:         144
        .size:           8
        .value_kind:     hidden_hostcall_buffer
    .group_segment_fixed_size: 0
    .kernarg_segment_align: 8
    .kernarg_segment_size: 320
    .language:       OpenCL C
    .language_version:
      - 2
      - 0
    .max_flat_workgroup_size: 1024
    .name:           _ZN5aiter17wvSplitKQ_hf_sml_I6__halfhLi64ELi2ELi16ELi16ELi2ELi2EEEviiiPKT0_S4_PT_PKfS8_ii
    .private_segment_fixed_size: 64
    .sgpr_count:     36
    .sgpr_spill_count: 0
    .symbol:         _ZN5aiter17wvSplitKQ_hf_sml_I6__halfhLi64ELi2ELi16ELi16ELi2ELi2EEEviiiPKT0_S4_PT_PKfS8_ii.kd
    .uniform_work_group_size: 1
    .uses_dynamic_stack: false
    .vgpr_count:     50
    .vgpr_spill_count: 0
    .wavefront_size: 32
    .workgroup_processor_mode: 1
  - .args:
      - .offset:         0
        .size:           4
        .value_kind:     by_value
      - .offset:         4
        .size:           4
        .value_kind:     by_value
      - .offset:         8
        .size:           4
        .value_kind:     by_value
      - .address_space:  global
        .offset:         16
        .size:           8
        .value_kind:     global_buffer
      - .actual_access:  read_only
        .address_space:  global
        .offset:         24
        .size:           8
        .value_kind:     global_buffer
      - .address_space:  global
        .offset:         32
        .size:           8
        .value_kind:     global_buffer
      - .actual_access:  read_only
        .address_space:  global
        .offset:         40
        .size:           8
        .value_kind:     global_buffer
      - .actual_access:  read_only
        .address_space:  global
        .offset:         48
        .size:           8
        .value_kind:     global_buffer
      - .offset:         56
        .size:           4
        .value_kind:     by_value
      - .offset:         60
        .size:           4
        .value_kind:     by_value
      - .offset:         64
        .size:           4
        .value_kind:     hidden_block_count_x
      - .offset:         68
        .size:           4
        .value_kind:     hidden_block_count_y
      - .offset:         72
        .size:           4
        .value_kind:     hidden_block_count_z
      - .offset:         76
        .size:           2
        .value_kind:     hidden_group_size_x
      - .offset:         78
        .size:           2
        .value_kind:     hidden_group_size_y
      - .offset:         80
        .size:           2
        .value_kind:     hidden_group_size_z
      - .offset:         82
        .size:           2
        .value_kind:     hidden_remainder_x
      - .offset:         84
        .size:           2
        .value_kind:     hidden_remainder_y
      - .offset:         86
        .size:           2
        .value_kind:     hidden_remainder_z
      - .offset:         104
        .size:           8
        .value_kind:     hidden_global_offset_x
      - .offset:         112
        .size:           8
        .value_kind:     hidden_global_offset_y
      - .offset:         120
        .size:           8
        .value_kind:     hidden_global_offset_z
      - .offset:         128
        .size:           2
        .value_kind:     hidden_grid_dims
      - .offset:         144
        .size:           8
        .value_kind:     hidden_hostcall_buffer
    .group_segment_fixed_size: 0
    .kernarg_segment_align: 8
    .kernarg_segment_size: 320
    .language:       OpenCL C
    .language_version:
      - 2
      - 0
    .max_flat_workgroup_size: 1024
    .name:           _ZN5aiter13wvSplitKQ_hf_I6__halfhLi64ELi2ELi16ELi16ELi2ELi2EEEviiiPKT0_S4_PT_PKfS8_ii
    .private_segment_fixed_size: 64
    .sgpr_count:     36
    .sgpr_spill_count: 0
    .symbol:         _ZN5aiter13wvSplitKQ_hf_I6__halfhLi64ELi2ELi16ELi16ELi2ELi2EEEviiiPKT0_S4_PT_PKfS8_ii.kd
    .uniform_work_group_size: 1
    .uses_dynamic_stack: false
    .vgpr_count:     50
    .vgpr_spill_count: 0
    .wavefront_size: 32
    .workgroup_processor_mode: 1
  - .args:
      - .offset:         0
        .size:           4
        .value_kind:     by_value
      - .offset:         4
        .size:           4
        .value_kind:     by_value
      - .offset:         8
        .size:           4
        .value_kind:     by_value
      - .address_space:  global
        .offset:         16
        .size:           8
        .value_kind:     global_buffer
      - .actual_access:  read_only
        .address_space:  global
        .offset:         24
        .size:           8
        .value_kind:     global_buffer
      - .address_space:  global
        .offset:         32
        .size:           8
        .value_kind:     global_buffer
      - .actual_access:  read_only
        .address_space:  global
        .offset:         40
        .size:           8
        .value_kind:     global_buffer
      - .actual_access:  read_only
        .address_space:  global
        .offset:         48
        .size:           8
        .value_kind:     global_buffer
      - .offset:         56
        .size:           4
        .value_kind:     by_value
      - .offset:         60
        .size:           4
        .value_kind:     by_value
      - .offset:         64
        .size:           4
        .value_kind:     hidden_block_count_x
      - .offset:         68
        .size:           4
        .value_kind:     hidden_block_count_y
      - .offset:         72
        .size:           4
        .value_kind:     hidden_block_count_z
      - .offset:         76
        .size:           2
        .value_kind:     hidden_group_size_x
      - .offset:         78
        .size:           2
        .value_kind:     hidden_group_size_y
      - .offset:         80
        .size:           2
        .value_kind:     hidden_group_size_z
      - .offset:         82
        .size:           2
        .value_kind:     hidden_remainder_x
      - .offset:         84
        .size:           2
        .value_kind:     hidden_remainder_y
      - .offset:         86
        .size:           2
        .value_kind:     hidden_remainder_z
      - .offset:         104
        .size:           8
        .value_kind:     hidden_global_offset_x
      - .offset:         112
        .size:           8
        .value_kind:     hidden_global_offset_y
      - .offset:         120
        .size:           8
        .value_kind:     hidden_global_offset_z
      - .offset:         128
        .size:           2
        .value_kind:     hidden_grid_dims
      - .offset:         144
        .size:           8
        .value_kind:     hidden_hostcall_buffer
    .group_segment_fixed_size: 0
    .kernarg_segment_align: 8
    .kernarg_segment_size: 320
    .language:       OpenCL C
    .language_version:
      - 2
      - 0
    .max_flat_workgroup_size: 1024
    .name:           _ZN5aiter17wvSplitKQ_hf_sml_I6__halfhLi64ELi4ELi16ELi16ELi1ELi3EEEviiiPKT0_S4_PT_PKfS8_ii
    .private_segment_fixed_size: 64
    .sgpr_count:     36
    .sgpr_spill_count: 0
    .symbol:         _ZN5aiter17wvSplitKQ_hf_sml_I6__halfhLi64ELi4ELi16ELi16ELi1ELi3EEEviiiPKT0_S4_PT_PKfS8_ii.kd
    .uniform_work_group_size: 1
    .uses_dynamic_stack: false
    .vgpr_count:     50
    .vgpr_spill_count: 0
    .wavefront_size: 32
    .workgroup_processor_mode: 1
  - .args:
      - .offset:         0
        .size:           4
        .value_kind:     by_value
      - .offset:         4
        .size:           4
        .value_kind:     by_value
      - .offset:         8
        .size:           4
        .value_kind:     by_value
      - .address_space:  global
        .offset:         16
        .size:           8
        .value_kind:     global_buffer
      - .actual_access:  read_only
        .address_space:  global
        .offset:         24
        .size:           8
        .value_kind:     global_buffer
      - .address_space:  global
        .offset:         32
        .size:           8
        .value_kind:     global_buffer
      - .actual_access:  read_only
        .address_space:  global
        .offset:         40
        .size:           8
        .value_kind:     global_buffer
      - .actual_access:  read_only
        .address_space:  global
        .offset:         48
        .size:           8
        .value_kind:     global_buffer
      - .offset:         56
        .size:           4
        .value_kind:     by_value
      - .offset:         60
        .size:           4
        .value_kind:     by_value
      - .offset:         64
        .size:           4
        .value_kind:     hidden_block_count_x
      - .offset:         68
        .size:           4
        .value_kind:     hidden_block_count_y
      - .offset:         72
        .size:           4
        .value_kind:     hidden_block_count_z
      - .offset:         76
        .size:           2
        .value_kind:     hidden_group_size_x
      - .offset:         78
        .size:           2
        .value_kind:     hidden_group_size_y
      - .offset:         80
        .size:           2
        .value_kind:     hidden_group_size_z
      - .offset:         82
        .size:           2
        .value_kind:     hidden_remainder_x
      - .offset:         84
        .size:           2
        .value_kind:     hidden_remainder_y
      - .offset:         86
        .size:           2
        .value_kind:     hidden_remainder_z
      - .offset:         104
        .size:           8
        .value_kind:     hidden_global_offset_x
      - .offset:         112
        .size:           8
        .value_kind:     hidden_global_offset_y
      - .offset:         120
        .size:           8
        .value_kind:     hidden_global_offset_z
      - .offset:         128
        .size:           2
        .value_kind:     hidden_grid_dims
      - .offset:         144
        .size:           8
        .value_kind:     hidden_hostcall_buffer
    .group_segment_fixed_size: 0
    .kernarg_segment_align: 8
    .kernarg_segment_size: 320
    .language:       OpenCL C
    .language_version:
      - 2
      - 0
    .max_flat_workgroup_size: 1024
    .name:           _ZN5aiter13wvSplitKQ_hf_I6__halfhLi64ELi7ELi16ELi16ELi1ELi3EEEviiiPKT0_S4_PT_PKfS8_ii
    .private_segment_fixed_size: 64
    .sgpr_count:     36
    .sgpr_spill_count: 0
    .symbol:         _ZN5aiter13wvSplitKQ_hf_I6__halfhLi64ELi7ELi16ELi16ELi1ELi3EEEviiiPKT0_S4_PT_PKfS8_ii.kd
    .uniform_work_group_size: 1
    .uses_dynamic_stack: false
    .vgpr_count:     50
    .vgpr_spill_count: 0
    .wavefront_size: 32
    .workgroup_processor_mode: 1
  - .args:
      - .offset:         0
        .size:           4
        .value_kind:     by_value
      - .offset:         4
        .size:           4
        .value_kind:     by_value
      - .offset:         8
        .size:           4
        .value_kind:     by_value
      - .address_space:  global
        .offset:         16
        .size:           8
        .value_kind:     global_buffer
      - .actual_access:  read_only
        .address_space:  global
        .offset:         24
        .size:           8
        .value_kind:     global_buffer
      - .address_space:  global
        .offset:         32
        .size:           8
        .value_kind:     global_buffer
      - .actual_access:  read_only
        .address_space:  global
        .offset:         40
        .size:           8
        .value_kind:     global_buffer
      - .actual_access:  read_only
        .address_space:  global
        .offset:         48
        .size:           8
        .value_kind:     global_buffer
      - .offset:         56
        .size:           4
        .value_kind:     by_value
      - .offset:         60
        .size:           4
        .value_kind:     by_value
      - .offset:         64
        .size:           4
        .value_kind:     hidden_block_count_x
      - .offset:         68
        .size:           4
        .value_kind:     hidden_block_count_y
      - .offset:         72
        .size:           4
        .value_kind:     hidden_block_count_z
      - .offset:         76
        .size:           2
        .value_kind:     hidden_group_size_x
      - .offset:         78
        .size:           2
        .value_kind:     hidden_group_size_y
      - .offset:         80
        .size:           2
        .value_kind:     hidden_group_size_z
      - .offset:         82
        .size:           2
        .value_kind:     hidden_remainder_x
      - .offset:         84
        .size:           2
        .value_kind:     hidden_remainder_y
      - .offset:         86
        .size:           2
        .value_kind:     hidden_remainder_z
      - .offset:         104
        .size:           8
        .value_kind:     hidden_global_offset_x
      - .offset:         112
        .size:           8
        .value_kind:     hidden_global_offset_y
      - .offset:         120
        .size:           8
        .value_kind:     hidden_global_offset_z
      - .offset:         128
        .size:           2
        .value_kind:     hidden_grid_dims
      - .offset:         144
        .size:           8
        .value_kind:     hidden_hostcall_buffer
    .group_segment_fixed_size: 0
    .kernarg_segment_align: 8
    .kernarg_segment_size: 320
    .language:       OpenCL C
    .language_version:
      - 2
      - 0
    .max_flat_workgroup_size: 1024
    .name:           _ZN5aiter17wvSplitKQ_hf_sml_I6__halfhLi64ELi4ELi16ELi16ELi1ELi4EEEviiiPKT0_S4_PT_PKfS8_ii
    .private_segment_fixed_size: 64
    .sgpr_count:     36
    .sgpr_spill_count: 0
    .symbol:         _ZN5aiter17wvSplitKQ_hf_sml_I6__halfhLi64ELi4ELi16ELi16ELi1ELi4EEEviiiPKT0_S4_PT_PKfS8_ii.kd
    .uniform_work_group_size: 1
    .uses_dynamic_stack: false
    .vgpr_count:     50
    .vgpr_spill_count: 0
    .wavefront_size: 32
    .workgroup_processor_mode: 1
  - .args:
      - .offset:         0
        .size:           4
        .value_kind:     by_value
      - .offset:         4
        .size:           4
        .value_kind:     by_value
      - .offset:         8
        .size:           4
        .value_kind:     by_value
      - .address_space:  global
        .offset:         16
        .size:           8
        .value_kind:     global_buffer
      - .actual_access:  read_only
        .address_space:  global
        .offset:         24
        .size:           8
        .value_kind:     global_buffer
      - .address_space:  global
        .offset:         32
        .size:           8
        .value_kind:     global_buffer
      - .actual_access:  read_only
        .address_space:  global
        .offset:         40
        .size:           8
        .value_kind:     global_buffer
      - .actual_access:  read_only
        .address_space:  global
        .offset:         48
        .size:           8
        .value_kind:     global_buffer
      - .offset:         56
        .size:           4
        .value_kind:     by_value
      - .offset:         60
        .size:           4
        .value_kind:     by_value
      - .offset:         64
        .size:           4
        .value_kind:     hidden_block_count_x
      - .offset:         68
        .size:           4
        .value_kind:     hidden_block_count_y
      - .offset:         72
        .size:           4
        .value_kind:     hidden_block_count_z
      - .offset:         76
        .size:           2
        .value_kind:     hidden_group_size_x
      - .offset:         78
        .size:           2
        .value_kind:     hidden_group_size_y
      - .offset:         80
        .size:           2
        .value_kind:     hidden_group_size_z
      - .offset:         82
        .size:           2
        .value_kind:     hidden_remainder_x
      - .offset:         84
        .size:           2
        .value_kind:     hidden_remainder_y
      - .offset:         86
        .size:           2
        .value_kind:     hidden_remainder_z
      - .offset:         104
        .size:           8
        .value_kind:     hidden_global_offset_x
      - .offset:         112
        .size:           8
        .value_kind:     hidden_global_offset_y
      - .offset:         120
        .size:           8
        .value_kind:     hidden_global_offset_z
      - .offset:         128
        .size:           2
        .value_kind:     hidden_grid_dims
      - .offset:         144
        .size:           8
        .value_kind:     hidden_hostcall_buffer
    .group_segment_fixed_size: 0
    .kernarg_segment_align: 8
    .kernarg_segment_size: 320
    .language:       OpenCL C
    .language_version:
      - 2
      - 0
    .max_flat_workgroup_size: 1024
    .name:           _ZN5aiter13wvSplitKQ_hf_I6__halfhLi64ELi7ELi16ELi16ELi1ELi4EEEviiiPKT0_S4_PT_PKfS8_ii
    .private_segment_fixed_size: 64
    .sgpr_count:     36
    .sgpr_spill_count: 0
    .symbol:         _ZN5aiter13wvSplitKQ_hf_I6__halfhLi64ELi7ELi16ELi16ELi1ELi4EEEviiiPKT0_S4_PT_PKfS8_ii.kd
    .uniform_work_group_size: 1
    .uses_dynamic_stack: false
    .vgpr_count:     50
    .vgpr_spill_count: 0
    .wavefront_size: 32
    .workgroup_processor_mode: 1
  - .args:
      - .offset:         0
        .size:           4
        .value_kind:     by_value
      - .offset:         4
        .size:           4
        .value_kind:     by_value
      - .offset:         8
        .size:           4
        .value_kind:     by_value
      - .address_space:  global
        .offset:         16
        .size:           8
        .value_kind:     global_buffer
      - .actual_access:  read_only
        .address_space:  global
        .offset:         24
        .size:           8
        .value_kind:     global_buffer
      - .address_space:  global
        .offset:         32
        .size:           8
        .value_kind:     global_buffer
      - .actual_access:  read_only
        .address_space:  global
        .offset:         40
        .size:           8
        .value_kind:     global_buffer
      - .actual_access:  read_only
        .address_space:  global
        .offset:         48
        .size:           8
        .value_kind:     global_buffer
      - .offset:         56
        .size:           4
        .value_kind:     by_value
      - .offset:         60
        .size:           4
        .value_kind:     by_value
      - .offset:         64
        .size:           4
        .value_kind:     hidden_block_count_x
      - .offset:         68
        .size:           4
        .value_kind:     hidden_block_count_y
      - .offset:         72
        .size:           4
        .value_kind:     hidden_block_count_z
      - .offset:         76
        .size:           2
        .value_kind:     hidden_group_size_x
      - .offset:         78
        .size:           2
        .value_kind:     hidden_group_size_y
      - .offset:         80
        .size:           2
        .value_kind:     hidden_group_size_z
      - .offset:         82
        .size:           2
        .value_kind:     hidden_remainder_x
      - .offset:         84
        .size:           2
        .value_kind:     hidden_remainder_y
      - .offset:         86
        .size:           2
        .value_kind:     hidden_remainder_z
      - .offset:         104
        .size:           8
        .value_kind:     hidden_global_offset_x
      - .offset:         112
        .size:           8
        .value_kind:     hidden_global_offset_y
      - .offset:         120
        .size:           8
        .value_kind:     hidden_global_offset_z
      - .offset:         128
        .size:           2
        .value_kind:     hidden_grid_dims
      - .offset:         144
        .size:           8
        .value_kind:     hidden_hostcall_buffer
    .group_segment_fixed_size: 0
    .kernarg_segment_align: 8
    .kernarg_segment_size: 320
    .language:       OpenCL C
    .language_version:
      - 2
      - 0
    .max_flat_workgroup_size: 1024
    .name:           _ZN5aiter17wvSplitKQ_hf_sml_I14__hip_bfloat16hLi64ELi2ELi16ELi16ELi2ELi1EEEviiiPKT0_S4_PT_PKfS8_ii
    .private_segment_fixed_size: 64
    .sgpr_count:     36
    .sgpr_spill_count: 0
    .symbol:         _ZN5aiter17wvSplitKQ_hf_sml_I14__hip_bfloat16hLi64ELi2ELi16ELi16ELi2ELi1EEEviiiPKT0_S4_PT_PKfS8_ii.kd
    .uniform_work_group_size: 1
    .uses_dynamic_stack: false
    .vgpr_count:     50
    .vgpr_spill_count: 0
    .wavefront_size: 32
    .workgroup_processor_mode: 1
  - .args:
      - .offset:         0
        .size:           4
        .value_kind:     by_value
      - .offset:         4
        .size:           4
        .value_kind:     by_value
      - .offset:         8
        .size:           4
        .value_kind:     by_value
      - .address_space:  global
        .offset:         16
        .size:           8
        .value_kind:     global_buffer
      - .actual_access:  read_only
        .address_space:  global
        .offset:         24
        .size:           8
        .value_kind:     global_buffer
      - .address_space:  global
        .offset:         32
        .size:           8
        .value_kind:     global_buffer
      - .actual_access:  read_only
        .address_space:  global
        .offset:         40
        .size:           8
        .value_kind:     global_buffer
      - .actual_access:  read_only
        .address_space:  global
        .offset:         48
        .size:           8
        .value_kind:     global_buffer
      - .offset:         56
        .size:           4
        .value_kind:     by_value
      - .offset:         60
        .size:           4
        .value_kind:     by_value
      - .offset:         64
        .size:           4
        .value_kind:     hidden_block_count_x
      - .offset:         68
        .size:           4
        .value_kind:     hidden_block_count_y
      - .offset:         72
        .size:           4
        .value_kind:     hidden_block_count_z
      - .offset:         76
        .size:           2
        .value_kind:     hidden_group_size_x
      - .offset:         78
        .size:           2
        .value_kind:     hidden_group_size_y
      - .offset:         80
        .size:           2
        .value_kind:     hidden_group_size_z
      - .offset:         82
        .size:           2
        .value_kind:     hidden_remainder_x
      - .offset:         84
        .size:           2
        .value_kind:     hidden_remainder_y
      - .offset:         86
        .size:           2
        .value_kind:     hidden_remainder_z
      - .offset:         104
        .size:           8
        .value_kind:     hidden_global_offset_x
      - .offset:         112
        .size:           8
        .value_kind:     hidden_global_offset_y
      - .offset:         120
        .size:           8
        .value_kind:     hidden_global_offset_z
      - .offset:         128
        .size:           2
        .value_kind:     hidden_grid_dims
      - .offset:         144
        .size:           8
        .value_kind:     hidden_hostcall_buffer
    .group_segment_fixed_size: 0
    .kernarg_segment_align: 8
    .kernarg_segment_size: 320
    .language:       OpenCL C
    .language_version:
      - 2
      - 0
    .max_flat_workgroup_size: 1024
    .name:           _ZN5aiter13wvSplitKQ_hf_I14__hip_bfloat16hLi64ELi2ELi16ELi16ELi2ELi1EEEviiiPKT0_S4_PT_PKfS8_ii
    .private_segment_fixed_size: 64
    .sgpr_count:     36
    .sgpr_spill_count: 0
    .symbol:         _ZN5aiter13wvSplitKQ_hf_I14__hip_bfloat16hLi64ELi2ELi16ELi16ELi2ELi1EEEviiiPKT0_S4_PT_PKfS8_ii.kd
    .uniform_work_group_size: 1
    .uses_dynamic_stack: false
    .vgpr_count:     50
    .vgpr_spill_count: 0
    .wavefront_size: 32
    .workgroup_processor_mode: 1
  - .args:
      - .offset:         0
        .size:           4
        .value_kind:     by_value
      - .offset:         4
        .size:           4
        .value_kind:     by_value
      - .offset:         8
        .size:           4
        .value_kind:     by_value
      - .address_space:  global
        .offset:         16
        .size:           8
        .value_kind:     global_buffer
      - .actual_access:  read_only
        .address_space:  global
        .offset:         24
        .size:           8
        .value_kind:     global_buffer
      - .address_space:  global
        .offset:         32
        .size:           8
        .value_kind:     global_buffer
      - .actual_access:  read_only
        .address_space:  global
        .offset:         40
        .size:           8
        .value_kind:     global_buffer
      - .actual_access:  read_only
        .address_space:  global
        .offset:         48
        .size:           8
        .value_kind:     global_buffer
      - .offset:         56
        .size:           4
        .value_kind:     by_value
      - .offset:         60
        .size:           4
        .value_kind:     by_value
      - .offset:         64
        .size:           4
        .value_kind:     hidden_block_count_x
      - .offset:         68
        .size:           4
        .value_kind:     hidden_block_count_y
      - .offset:         72
        .size:           4
        .value_kind:     hidden_block_count_z
      - .offset:         76
        .size:           2
        .value_kind:     hidden_group_size_x
      - .offset:         78
        .size:           2
        .value_kind:     hidden_group_size_y
      - .offset:         80
        .size:           2
        .value_kind:     hidden_group_size_z
      - .offset:         82
        .size:           2
        .value_kind:     hidden_remainder_x
      - .offset:         84
        .size:           2
        .value_kind:     hidden_remainder_y
      - .offset:         86
        .size:           2
        .value_kind:     hidden_remainder_z
      - .offset:         104
        .size:           8
        .value_kind:     hidden_global_offset_x
      - .offset:         112
        .size:           8
        .value_kind:     hidden_global_offset_y
      - .offset:         120
        .size:           8
        .value_kind:     hidden_global_offset_z
      - .offset:         128
        .size:           2
        .value_kind:     hidden_grid_dims
      - .offset:         144
        .size:           8
        .value_kind:     hidden_hostcall_buffer
    .group_segment_fixed_size: 0
    .kernarg_segment_align: 8
    .kernarg_segment_size: 320
    .language:       OpenCL C
    .language_version:
      - 2
      - 0
    .max_flat_workgroup_size: 1024
    .name:           _ZN5aiter17wvSplitKQ_hf_sml_I14__hip_bfloat16hLi64ELi2ELi16ELi16ELi2ELi2EEEviiiPKT0_S4_PT_PKfS8_ii
    .private_segment_fixed_size: 64
    .sgpr_count:     36
    .sgpr_spill_count: 0
    .symbol:         _ZN5aiter17wvSplitKQ_hf_sml_I14__hip_bfloat16hLi64ELi2ELi16ELi16ELi2ELi2EEEviiiPKT0_S4_PT_PKfS8_ii.kd
    .uniform_work_group_size: 1
    .uses_dynamic_stack: false
    .vgpr_count:     50
    .vgpr_spill_count: 0
    .wavefront_size: 32
    .workgroup_processor_mode: 1
  - .args:
      - .offset:         0
        .size:           4
        .value_kind:     by_value
      - .offset:         4
        .size:           4
        .value_kind:     by_value
      - .offset:         8
        .size:           4
        .value_kind:     by_value
      - .address_space:  global
        .offset:         16
        .size:           8
        .value_kind:     global_buffer
      - .actual_access:  read_only
        .address_space:  global
        .offset:         24
        .size:           8
        .value_kind:     global_buffer
      - .address_space:  global
        .offset:         32
        .size:           8
        .value_kind:     global_buffer
      - .actual_access:  read_only
        .address_space:  global
        .offset:         40
        .size:           8
        .value_kind:     global_buffer
      - .actual_access:  read_only
        .address_space:  global
        .offset:         48
        .size:           8
        .value_kind:     global_buffer
      - .offset:         56
        .size:           4
        .value_kind:     by_value
      - .offset:         60
        .size:           4
        .value_kind:     by_value
      - .offset:         64
        .size:           4
        .value_kind:     hidden_block_count_x
      - .offset:         68
        .size:           4
        .value_kind:     hidden_block_count_y
      - .offset:         72
        .size:           4
        .value_kind:     hidden_block_count_z
      - .offset:         76
        .size:           2
        .value_kind:     hidden_group_size_x
      - .offset:         78
        .size:           2
        .value_kind:     hidden_group_size_y
      - .offset:         80
        .size:           2
        .value_kind:     hidden_group_size_z
      - .offset:         82
        .size:           2
        .value_kind:     hidden_remainder_x
      - .offset:         84
        .size:           2
        .value_kind:     hidden_remainder_y
      - .offset:         86
        .size:           2
        .value_kind:     hidden_remainder_z
      - .offset:         104
        .size:           8
        .value_kind:     hidden_global_offset_x
      - .offset:         112
        .size:           8
        .value_kind:     hidden_global_offset_y
      - .offset:         120
        .size:           8
        .value_kind:     hidden_global_offset_z
      - .offset:         128
        .size:           2
        .value_kind:     hidden_grid_dims
      - .offset:         144
        .size:           8
        .value_kind:     hidden_hostcall_buffer
    .group_segment_fixed_size: 0
    .kernarg_segment_align: 8
    .kernarg_segment_size: 320
    .language:       OpenCL C
    .language_version:
      - 2
      - 0
    .max_flat_workgroup_size: 1024
    .name:           _ZN5aiter13wvSplitKQ_hf_I14__hip_bfloat16hLi64ELi2ELi16ELi16ELi2ELi2EEEviiiPKT0_S4_PT_PKfS8_ii
    .private_segment_fixed_size: 64
    .sgpr_count:     36
    .sgpr_spill_count: 0
    .symbol:         _ZN5aiter13wvSplitKQ_hf_I14__hip_bfloat16hLi64ELi2ELi16ELi16ELi2ELi2EEEviiiPKT0_S4_PT_PKfS8_ii.kd
    .uniform_work_group_size: 1
    .uses_dynamic_stack: false
    .vgpr_count:     50
    .vgpr_spill_count: 0
    .wavefront_size: 32
    .workgroup_processor_mode: 1
  - .args:
      - .offset:         0
        .size:           4
        .value_kind:     by_value
      - .offset:         4
        .size:           4
        .value_kind:     by_value
      - .offset:         8
        .size:           4
        .value_kind:     by_value
      - .address_space:  global
        .offset:         16
        .size:           8
        .value_kind:     global_buffer
      - .actual_access:  read_only
        .address_space:  global
        .offset:         24
        .size:           8
        .value_kind:     global_buffer
      - .address_space:  global
        .offset:         32
        .size:           8
        .value_kind:     global_buffer
      - .actual_access:  read_only
        .address_space:  global
        .offset:         40
        .size:           8
        .value_kind:     global_buffer
      - .actual_access:  read_only
        .address_space:  global
        .offset:         48
        .size:           8
        .value_kind:     global_buffer
      - .offset:         56
        .size:           4
        .value_kind:     by_value
      - .offset:         60
        .size:           4
        .value_kind:     by_value
      - .offset:         64
        .size:           4
        .value_kind:     hidden_block_count_x
      - .offset:         68
        .size:           4
        .value_kind:     hidden_block_count_y
      - .offset:         72
        .size:           4
        .value_kind:     hidden_block_count_z
      - .offset:         76
        .size:           2
        .value_kind:     hidden_group_size_x
      - .offset:         78
        .size:           2
        .value_kind:     hidden_group_size_y
      - .offset:         80
        .size:           2
        .value_kind:     hidden_group_size_z
      - .offset:         82
        .size:           2
        .value_kind:     hidden_remainder_x
      - .offset:         84
        .size:           2
        .value_kind:     hidden_remainder_y
      - .offset:         86
        .size:           2
        .value_kind:     hidden_remainder_z
      - .offset:         104
        .size:           8
        .value_kind:     hidden_global_offset_x
      - .offset:         112
        .size:           8
        .value_kind:     hidden_global_offset_y
      - .offset:         120
        .size:           8
        .value_kind:     hidden_global_offset_z
      - .offset:         128
        .size:           2
        .value_kind:     hidden_grid_dims
      - .offset:         144
        .size:           8
        .value_kind:     hidden_hostcall_buffer
    .group_segment_fixed_size: 0
    .kernarg_segment_align: 8
    .kernarg_segment_size: 320
    .language:       OpenCL C
    .language_version:
      - 2
      - 0
    .max_flat_workgroup_size: 1024
    .name:           _ZN5aiter17wvSplitKQ_hf_sml_I14__hip_bfloat16hLi64ELi4ELi16ELi16ELi1ELi3EEEviiiPKT0_S4_PT_PKfS8_ii
    .private_segment_fixed_size: 64
    .sgpr_count:     36
    .sgpr_spill_count: 0
    .symbol:         _ZN5aiter17wvSplitKQ_hf_sml_I14__hip_bfloat16hLi64ELi4ELi16ELi16ELi1ELi3EEEviiiPKT0_S4_PT_PKfS8_ii.kd
    .uniform_work_group_size: 1
    .uses_dynamic_stack: false
    .vgpr_count:     50
    .vgpr_spill_count: 0
    .wavefront_size: 32
    .workgroup_processor_mode: 1
  - .args:
      - .offset:         0
        .size:           4
        .value_kind:     by_value
      - .offset:         4
        .size:           4
        .value_kind:     by_value
      - .offset:         8
        .size:           4
        .value_kind:     by_value
      - .address_space:  global
        .offset:         16
        .size:           8
        .value_kind:     global_buffer
      - .actual_access:  read_only
        .address_space:  global
        .offset:         24
        .size:           8
        .value_kind:     global_buffer
      - .address_space:  global
        .offset:         32
        .size:           8
        .value_kind:     global_buffer
      - .actual_access:  read_only
        .address_space:  global
        .offset:         40
        .size:           8
        .value_kind:     global_buffer
      - .actual_access:  read_only
        .address_space:  global
        .offset:         48
        .size:           8
        .value_kind:     global_buffer
      - .offset:         56
        .size:           4
        .value_kind:     by_value
      - .offset:         60
        .size:           4
        .value_kind:     by_value
      - .offset:         64
        .size:           4
        .value_kind:     hidden_block_count_x
      - .offset:         68
        .size:           4
        .value_kind:     hidden_block_count_y
      - .offset:         72
        .size:           4
        .value_kind:     hidden_block_count_z
      - .offset:         76
        .size:           2
        .value_kind:     hidden_group_size_x
      - .offset:         78
        .size:           2
        .value_kind:     hidden_group_size_y
      - .offset:         80
        .size:           2
        .value_kind:     hidden_group_size_z
      - .offset:         82
        .size:           2
        .value_kind:     hidden_remainder_x
      - .offset:         84
        .size:           2
        .value_kind:     hidden_remainder_y
      - .offset:         86
        .size:           2
        .value_kind:     hidden_remainder_z
      - .offset:         104
        .size:           8
        .value_kind:     hidden_global_offset_x
      - .offset:         112
        .size:           8
        .value_kind:     hidden_global_offset_y
      - .offset:         120
        .size:           8
        .value_kind:     hidden_global_offset_z
      - .offset:         128
        .size:           2
        .value_kind:     hidden_grid_dims
      - .offset:         144
        .size:           8
        .value_kind:     hidden_hostcall_buffer
    .group_segment_fixed_size: 0
    .kernarg_segment_align: 8
    .kernarg_segment_size: 320
    .language:       OpenCL C
    .language_version:
      - 2
      - 0
    .max_flat_workgroup_size: 1024
    .name:           _ZN5aiter13wvSplitKQ_hf_I14__hip_bfloat16hLi64ELi7ELi16ELi16ELi1ELi3EEEviiiPKT0_S4_PT_PKfS8_ii
    .private_segment_fixed_size: 64
    .sgpr_count:     36
    .sgpr_spill_count: 0
    .symbol:         _ZN5aiter13wvSplitKQ_hf_I14__hip_bfloat16hLi64ELi7ELi16ELi16ELi1ELi3EEEviiiPKT0_S4_PT_PKfS8_ii.kd
    .uniform_work_group_size: 1
    .uses_dynamic_stack: false
    .vgpr_count:     50
    .vgpr_spill_count: 0
    .wavefront_size: 32
    .workgroup_processor_mode: 1
  - .args:
      - .offset:         0
        .size:           4
        .value_kind:     by_value
      - .offset:         4
        .size:           4
        .value_kind:     by_value
      - .offset:         8
        .size:           4
        .value_kind:     by_value
      - .address_space:  global
        .offset:         16
        .size:           8
        .value_kind:     global_buffer
      - .actual_access:  read_only
        .address_space:  global
        .offset:         24
        .size:           8
        .value_kind:     global_buffer
      - .address_space:  global
        .offset:         32
        .size:           8
        .value_kind:     global_buffer
      - .actual_access:  read_only
        .address_space:  global
        .offset:         40
        .size:           8
        .value_kind:     global_buffer
      - .actual_access:  read_only
        .address_space:  global
        .offset:         48
        .size:           8
        .value_kind:     global_buffer
      - .offset:         56
        .size:           4
        .value_kind:     by_value
      - .offset:         60
        .size:           4
        .value_kind:     by_value
      - .offset:         64
        .size:           4
        .value_kind:     hidden_block_count_x
      - .offset:         68
        .size:           4
        .value_kind:     hidden_block_count_y
      - .offset:         72
        .size:           4
        .value_kind:     hidden_block_count_z
      - .offset:         76
        .size:           2
        .value_kind:     hidden_group_size_x
      - .offset:         78
        .size:           2
        .value_kind:     hidden_group_size_y
      - .offset:         80
        .size:           2
        .value_kind:     hidden_group_size_z
      - .offset:         82
        .size:           2
        .value_kind:     hidden_remainder_x
      - .offset:         84
        .size:           2
        .value_kind:     hidden_remainder_y
      - .offset:         86
        .size:           2
        .value_kind:     hidden_remainder_z
      - .offset:         104
        .size:           8
        .value_kind:     hidden_global_offset_x
      - .offset:         112
        .size:           8
        .value_kind:     hidden_global_offset_y
      - .offset:         120
        .size:           8
        .value_kind:     hidden_global_offset_z
      - .offset:         128
        .size:           2
        .value_kind:     hidden_grid_dims
      - .offset:         144
        .size:           8
        .value_kind:     hidden_hostcall_buffer
    .group_segment_fixed_size: 0
    .kernarg_segment_align: 8
    .kernarg_segment_size: 320
    .language:       OpenCL C
    .language_version:
      - 2
      - 0
    .max_flat_workgroup_size: 1024
    .name:           _ZN5aiter17wvSplitKQ_hf_sml_I14__hip_bfloat16hLi64ELi4ELi16ELi16ELi1ELi4EEEviiiPKT0_S4_PT_PKfS8_ii
    .private_segment_fixed_size: 64
    .sgpr_count:     36
    .sgpr_spill_count: 0
    .symbol:         _ZN5aiter17wvSplitKQ_hf_sml_I14__hip_bfloat16hLi64ELi4ELi16ELi16ELi1ELi4EEEviiiPKT0_S4_PT_PKfS8_ii.kd
    .uniform_work_group_size: 1
    .uses_dynamic_stack: false
    .vgpr_count:     50
    .vgpr_spill_count: 0
    .wavefront_size: 32
    .workgroup_processor_mode: 1
  - .args:
      - .offset:         0
        .size:           4
        .value_kind:     by_value
      - .offset:         4
        .size:           4
        .value_kind:     by_value
      - .offset:         8
        .size:           4
        .value_kind:     by_value
      - .address_space:  global
        .offset:         16
        .size:           8
        .value_kind:     global_buffer
      - .actual_access:  read_only
        .address_space:  global
        .offset:         24
        .size:           8
        .value_kind:     global_buffer
      - .address_space:  global
        .offset:         32
        .size:           8
        .value_kind:     global_buffer
      - .actual_access:  read_only
        .address_space:  global
        .offset:         40
        .size:           8
        .value_kind:     global_buffer
      - .actual_access:  read_only
        .address_space:  global
        .offset:         48
        .size:           8
        .value_kind:     global_buffer
      - .offset:         56
        .size:           4
        .value_kind:     by_value
      - .offset:         60
        .size:           4
        .value_kind:     by_value
      - .offset:         64
        .size:           4
        .value_kind:     hidden_block_count_x
      - .offset:         68
        .size:           4
        .value_kind:     hidden_block_count_y
      - .offset:         72
        .size:           4
        .value_kind:     hidden_block_count_z
      - .offset:         76
        .size:           2
        .value_kind:     hidden_group_size_x
      - .offset:         78
        .size:           2
        .value_kind:     hidden_group_size_y
      - .offset:         80
        .size:           2
        .value_kind:     hidden_group_size_z
      - .offset:         82
        .size:           2
        .value_kind:     hidden_remainder_x
      - .offset:         84
        .size:           2
        .value_kind:     hidden_remainder_y
      - .offset:         86
        .size:           2
        .value_kind:     hidden_remainder_z
      - .offset:         104
        .size:           8
        .value_kind:     hidden_global_offset_x
      - .offset:         112
        .size:           8
        .value_kind:     hidden_global_offset_y
      - .offset:         120
        .size:           8
        .value_kind:     hidden_global_offset_z
      - .offset:         128
        .size:           2
        .value_kind:     hidden_grid_dims
      - .offset:         144
        .size:           8
        .value_kind:     hidden_hostcall_buffer
    .group_segment_fixed_size: 0
    .kernarg_segment_align: 8
    .kernarg_segment_size: 320
    .language:       OpenCL C
    .language_version:
      - 2
      - 0
    .max_flat_workgroup_size: 1024
    .name:           _ZN5aiter13wvSplitKQ_hf_I14__hip_bfloat16hLi64ELi7ELi16ELi16ELi1ELi4EEEviiiPKT0_S4_PT_PKfS8_ii
    .private_segment_fixed_size: 64
    .sgpr_count:     36
    .sgpr_spill_count: 0
    .symbol:         _ZN5aiter13wvSplitKQ_hf_I14__hip_bfloat16hLi64ELi7ELi16ELi16ELi1ELi4EEEviiiPKT0_S4_PT_PKfS8_ii.kd
    .uniform_work_group_size: 1
    .uses_dynamic_stack: false
    .vgpr_count:     50
    .vgpr_spill_count: 0
    .wavefront_size: 32
    .workgroup_processor_mode: 1
  - .args:
      - .offset:         0
        .size:           4
        .value_kind:     by_value
      - .offset:         4
        .size:           4
        .value_kind:     by_value
      - .address_space:  global
        .offset:         8
        .size:           8
        .value_kind:     global_buffer
      - .offset:         16
        .size:           4
        .value_kind:     by_value
      - .address_space:  global
        .offset:         24
        .size:           8
        .value_kind:     global_buffer
      - .address_space:  global
        .offset:         32
        .size:           8
        .value_kind:     global_buffer
      - .offset:         40
        .size:           4
        .value_kind:     hidden_block_count_x
      - .offset:         44
        .size:           4
        .value_kind:     hidden_block_count_y
      - .offset:         48
        .size:           4
        .value_kind:     hidden_block_count_z
      - .offset:         52
        .size:           2
        .value_kind:     hidden_group_size_x
      - .offset:         54
        .size:           2
        .value_kind:     hidden_group_size_y
      - .offset:         56
        .size:           2
        .value_kind:     hidden_group_size_z
      - .offset:         58
        .size:           2
        .value_kind:     hidden_remainder_x
      - .offset:         60
        .size:           2
        .value_kind:     hidden_remainder_y
      - .offset:         62
        .size:           2
        .value_kind:     hidden_remainder_z
      - .offset:         80
        .size:           8
        .value_kind:     hidden_global_offset_x
      - .offset:         88
        .size:           8
        .value_kind:     hidden_global_offset_y
      - .offset:         96
        .size:           8
        .value_kind:     hidden_global_offset_z
      - .offset:         104
        .size:           2
        .value_kind:     hidden_grid_dims
    .group_segment_fixed_size: 0
    .kernarg_segment_align: 8
    .kernarg_segment_size: 296
    .language:       OpenCL C
    .language_version:
      - 2
      - 0
    .max_flat_workgroup_size: 512
    .name:           _ZN5aiter14HGEMV_WFPerRowILi64ELi512ELi4ELi8EEEviiPKDF16_iS2_PDF16_
    .private_segment_fixed_size: 0
    .sgpr_count:     18
    .sgpr_spill_count: 0
    .symbol:         _ZN5aiter14HGEMV_WFPerRowILi64ELi512ELi4ELi8EEEviiPKDF16_iS2_PDF16_.kd
    .uniform_work_group_size: 1
    .uses_dynamic_stack: false
    .vgpr_count:     66
    .vgpr_spill_count: 0
    .wavefront_size: 32
    .workgroup_processor_mode: 1
  - .args:
      - .offset:         0
        .size:           4
        .value_kind:     by_value
      - .offset:         4
        .size:           4
        .value_kind:     by_value
      - .address_space:  global
        .offset:         8
        .size:           8
        .value_kind:     global_buffer
      - .offset:         16
        .size:           4
        .value_kind:     by_value
      - .address_space:  global
        .offset:         24
        .size:           8
        .value_kind:     global_buffer
      - .address_space:  global
        .offset:         32
        .size:           8
        .value_kind:     global_buffer
      - .offset:         40
        .size:           4
        .value_kind:     hidden_block_count_x
      - .offset:         44
        .size:           4
        .value_kind:     hidden_block_count_y
      - .offset:         48
        .size:           4
        .value_kind:     hidden_block_count_z
      - .offset:         52
        .size:           2
        .value_kind:     hidden_group_size_x
      - .offset:         54
        .size:           2
        .value_kind:     hidden_group_size_y
      - .offset:         56
        .size:           2
        .value_kind:     hidden_group_size_z
      - .offset:         58
        .size:           2
        .value_kind:     hidden_remainder_x
      - .offset:         60
        .size:           2
        .value_kind:     hidden_remainder_y
      - .offset:         62
        .size:           2
        .value_kind:     hidden_remainder_z
      - .offset:         80
        .size:           8
        .value_kind:     hidden_global_offset_x
      - .offset:         88
        .size:           8
        .value_kind:     hidden_global_offset_y
      - .offset:         96
        .size:           8
        .value_kind:     hidden_global_offset_z
      - .offset:         104
        .size:           2
        .value_kind:     hidden_grid_dims
    .group_segment_fixed_size: 0
    .kernarg_segment_align: 8
    .kernarg_segment_size: 296
    .language:       OpenCL C
    .language_version:
      - 2
      - 0
    .max_flat_workgroup_size: 512
    .name:           _ZN5aiter14HGEMV_WFPerRowILi64ELi512ELi2ELi8EEEviiPKDF16_iS2_PDF16_
    .private_segment_fixed_size: 0
    .sgpr_count:     18
    .sgpr_spill_count: 0
    .symbol:         _ZN5aiter14HGEMV_WFPerRowILi64ELi512ELi2ELi8EEEviiPKDF16_iS2_PDF16_.kd
    .uniform_work_group_size: 1
    .uses_dynamic_stack: false
    .vgpr_count:     44
    .vgpr_spill_count: 0
    .wavefront_size: 32
    .workgroup_processor_mode: 1
  - .args:
      - .offset:         0
        .size:           4
        .value_kind:     by_value
      - .offset:         4
        .size:           4
        .value_kind:     by_value
      - .address_space:  global
        .offset:         8
        .size:           8
        .value_kind:     global_buffer
      - .offset:         16
        .size:           4
        .value_kind:     by_value
      - .address_space:  global
        .offset:         24
        .size:           8
        .value_kind:     global_buffer
      - .address_space:  global
        .offset:         32
        .size:           8
        .value_kind:     global_buffer
      - .offset:         40
        .size:           4
        .value_kind:     hidden_block_count_x
      - .offset:         44
        .size:           4
        .value_kind:     hidden_block_count_y
      - .offset:         48
        .size:           4
        .value_kind:     hidden_block_count_z
      - .offset:         52
        .size:           2
        .value_kind:     hidden_group_size_x
      - .offset:         54
        .size:           2
        .value_kind:     hidden_group_size_y
      - .offset:         56
        .size:           2
        .value_kind:     hidden_group_size_z
      - .offset:         58
        .size:           2
        .value_kind:     hidden_remainder_x
      - .offset:         60
        .size:           2
        .value_kind:     hidden_remainder_y
      - .offset:         62
        .size:           2
        .value_kind:     hidden_remainder_z
      - .offset:         80
        .size:           8
        .value_kind:     hidden_global_offset_x
      - .offset:         88
        .size:           8
        .value_kind:     hidden_global_offset_y
      - .offset:         96
        .size:           8
        .value_kind:     hidden_global_offset_z
      - .offset:         104
        .size:           2
        .value_kind:     hidden_grid_dims
    .group_segment_fixed_size: 0
    .kernarg_segment_align: 8
    .kernarg_segment_size: 296
    .language:       OpenCL C
    .language_version:
      - 2
      - 0
    .max_flat_workgroup_size: 512
    .name:           _ZN5aiter14HGEMV_WFPerRowILi64ELi512ELi1ELi8EEEviiPKDF16_iS2_PDF16_
    .private_segment_fixed_size: 0
    .sgpr_count:     18
    .sgpr_spill_count: 0
    .symbol:         _ZN5aiter14HGEMV_WFPerRowILi64ELi512ELi1ELi8EEEviiPKDF16_iS2_PDF16_.kd
    .uniform_work_group_size: 1
    .uses_dynamic_stack: false
    .vgpr_count:     33
    .vgpr_spill_count: 0
    .wavefront_size: 32
    .workgroup_processor_mode: 1
amdhsa.target:   amdgcn-amd-amdhsa--gfx1100
amdhsa.version:
  - 1
  - 2
...

	.end_amdgpu_metadata
